;; amdgpu-corpus repo=ROCm/rocFFT kind=compiled arch=gfx950 opt=O3
	.text
	.amdgcn_target "amdgcn-amd-amdhsa--gfx950"
	.amdhsa_code_object_version 6
	.protected	fft_rtc_fwd_len924_factors_2_2_3_7_11_wgs_44_tpt_44_halfLds_sp_ip_CI_unitstride_sbrr_dirReg ; -- Begin function fft_rtc_fwd_len924_factors_2_2_3_7_11_wgs_44_tpt_44_halfLds_sp_ip_CI_unitstride_sbrr_dirReg
	.globl	fft_rtc_fwd_len924_factors_2_2_3_7_11_wgs_44_tpt_44_halfLds_sp_ip_CI_unitstride_sbrr_dirReg
	.p2align	8
	.type	fft_rtc_fwd_len924_factors_2_2_3_7_11_wgs_44_tpt_44_halfLds_sp_ip_CI_unitstride_sbrr_dirReg,@function
fft_rtc_fwd_len924_factors_2_2_3_7_11_wgs_44_tpt_44_halfLds_sp_ip_CI_unitstride_sbrr_dirReg: ; @fft_rtc_fwd_len924_factors_2_2_3_7_11_wgs_44_tpt_44_halfLds_sp_ip_CI_unitstride_sbrr_dirReg
; %bb.0:
	s_load_dwordx2 s[8:9], s[0:1], 0x50
	s_load_dwordx4 s[4:7], s[0:1], 0x0
	s_load_dwordx2 s[10:11], s[0:1], 0x18
	v_mul_u32_u24_e32 v1, 0x5d2, v0
	v_add_u32_sdwa v6, s2, v1 dst_sel:DWORD dst_unused:UNUSED_PAD src0_sel:DWORD src1_sel:WORD_1
	v_mov_b32_e32 v4, 0
	s_waitcnt lgkmcnt(0)
	v_cmp_lt_u64_e64 s[2:3], s[6:7], 2
	v_mov_b32_e32 v7, v4
	s_and_b64 vcc, exec, s[2:3]
	v_mov_b64_e32 v[2:3], 0
	s_cbranch_vccnz .LBB0_8
; %bb.1:
	s_load_dwordx2 s[2:3], s[0:1], 0x10
	s_add_u32 s12, s10, 8
	s_addc_u32 s13, s11, 0
	s_mov_b64 s[14:15], 1
	v_mov_b64_e32 v[2:3], 0
	s_waitcnt lgkmcnt(0)
	s_add_u32 s16, s2, 8
	s_addc_u32 s17, s3, 0
.LBB0_2:                                ; =>This Inner Loop Header: Depth=1
	s_load_dwordx2 s[18:19], s[16:17], 0x0
                                        ; implicit-def: $vgpr8_vgpr9
	s_waitcnt lgkmcnt(0)
	v_or_b32_e32 v5, s19, v7
	v_cmp_ne_u64_e32 vcc, 0, v[4:5]
	s_and_saveexec_b64 s[2:3], vcc
	s_xor_b64 s[20:21], exec, s[2:3]
	s_cbranch_execz .LBB0_4
; %bb.3:                                ;   in Loop: Header=BB0_2 Depth=1
	v_cvt_f32_u32_e32 v1, s18
	v_cvt_f32_u32_e32 v5, s19
	s_sub_u32 s2, 0, s18
	s_subb_u32 s3, 0, s19
	v_fmac_f32_e32 v1, 0x4f800000, v5
	v_rcp_f32_e32 v1, v1
	s_nop 0
	v_mul_f32_e32 v1, 0x5f7ffffc, v1
	v_mul_f32_e32 v5, 0x2f800000, v1
	v_trunc_f32_e32 v5, v5
	v_fmac_f32_e32 v1, 0xcf800000, v5
	v_cvt_u32_f32_e32 v5, v5
	v_cvt_u32_f32_e32 v1, v1
	v_mul_lo_u32 v8, s2, v5
	v_mul_hi_u32 v10, s2, v1
	v_mul_lo_u32 v9, s3, v1
	v_add_u32_e32 v10, v10, v8
	v_mul_lo_u32 v12, s2, v1
	v_add_u32_e32 v13, v10, v9
	v_mul_hi_u32 v8, v1, v12
	v_mul_hi_u32 v11, v1, v13
	v_mul_lo_u32 v10, v1, v13
	v_mov_b32_e32 v9, v4
	v_lshl_add_u64 v[8:9], v[8:9], 0, v[10:11]
	v_mul_hi_u32 v11, v5, v12
	v_mul_lo_u32 v12, v5, v12
	v_add_co_u32_e32 v8, vcc, v8, v12
	v_mul_hi_u32 v10, v5, v13
	s_nop 0
	v_addc_co_u32_e32 v8, vcc, v9, v11, vcc
	v_mov_b32_e32 v9, v4
	s_nop 0
	v_addc_co_u32_e32 v11, vcc, 0, v10, vcc
	v_mul_lo_u32 v10, v5, v13
	v_lshl_add_u64 v[8:9], v[8:9], 0, v[10:11]
	v_add_co_u32_e32 v1, vcc, v1, v8
	v_mul_lo_u32 v10, s2, v1
	s_nop 0
	v_addc_co_u32_e32 v5, vcc, v5, v9, vcc
	v_mul_lo_u32 v8, s2, v5
	v_mul_hi_u32 v9, s2, v1
	v_add_u32_e32 v8, v9, v8
	v_mul_lo_u32 v9, s3, v1
	v_add_u32_e32 v12, v8, v9
	v_mul_hi_u32 v14, v5, v10
	v_mul_lo_u32 v15, v5, v10
	v_mul_hi_u32 v9, v1, v12
	v_mul_lo_u32 v8, v1, v12
	v_mul_hi_u32 v10, v1, v10
	v_mov_b32_e32 v11, v4
	v_lshl_add_u64 v[8:9], v[10:11], 0, v[8:9]
	v_add_co_u32_e32 v8, vcc, v8, v15
	v_mul_hi_u32 v13, v5, v12
	s_nop 0
	v_addc_co_u32_e32 v8, vcc, v9, v14, vcc
	v_mul_lo_u32 v10, v5, v12
	s_nop 0
	v_addc_co_u32_e32 v11, vcc, 0, v13, vcc
	v_mov_b32_e32 v9, v4
	v_lshl_add_u64 v[8:9], v[8:9], 0, v[10:11]
	v_add_co_u32_e32 v1, vcc, v1, v8
	v_mul_hi_u32 v10, v6, v1
	s_nop 0
	v_addc_co_u32_e32 v5, vcc, v5, v9, vcc
	v_mad_u64_u32 v[8:9], s[2:3], v6, v5, 0
	v_mov_b32_e32 v11, v4
	v_lshl_add_u64 v[8:9], v[10:11], 0, v[8:9]
	v_mad_u64_u32 v[12:13], s[2:3], v7, v1, 0
	v_add_co_u32_e32 v1, vcc, v8, v12
	v_mad_u64_u32 v[10:11], s[2:3], v7, v5, 0
	s_nop 0
	v_addc_co_u32_e32 v8, vcc, v9, v13, vcc
	v_mov_b32_e32 v9, v4
	s_nop 0
	v_addc_co_u32_e32 v11, vcc, 0, v11, vcc
	v_lshl_add_u64 v[8:9], v[8:9], 0, v[10:11]
	v_mul_lo_u32 v1, s19, v8
	v_mul_lo_u32 v5, s18, v9
	v_mad_u64_u32 v[10:11], s[2:3], s18, v8, 0
	v_add3_u32 v1, v11, v5, v1
	v_sub_u32_e32 v5, v7, v1
	v_mov_b32_e32 v11, s19
	v_sub_co_u32_e32 v14, vcc, v6, v10
	v_lshl_add_u64 v[12:13], v[8:9], 0, 1
	s_nop 0
	v_subb_co_u32_e64 v5, s[2:3], v5, v11, vcc
	v_subrev_co_u32_e64 v10, s[2:3], s18, v14
	v_subb_co_u32_e32 v1, vcc, v7, v1, vcc
	s_nop 0
	v_subbrev_co_u32_e64 v5, s[2:3], 0, v5, s[2:3]
	v_cmp_le_u32_e64 s[2:3], s19, v5
	v_cmp_le_u32_e32 vcc, s19, v1
	s_nop 0
	v_cndmask_b32_e64 v11, 0, -1, s[2:3]
	v_cmp_le_u32_e64 s[2:3], s18, v10
	s_nop 1
	v_cndmask_b32_e64 v10, 0, -1, s[2:3]
	v_cmp_eq_u32_e64 s[2:3], s19, v5
	s_nop 1
	v_cndmask_b32_e64 v5, v11, v10, s[2:3]
	v_lshl_add_u64 v[10:11], v[8:9], 0, 2
	v_cmp_ne_u32_e64 s[2:3], 0, v5
	s_nop 1
	v_cndmask_b32_e64 v5, v13, v11, s[2:3]
	v_cndmask_b32_e64 v11, 0, -1, vcc
	v_cmp_le_u32_e32 vcc, s18, v14
	s_nop 1
	v_cndmask_b32_e64 v13, 0, -1, vcc
	v_cmp_eq_u32_e32 vcc, s19, v1
	s_nop 1
	v_cndmask_b32_e32 v1, v11, v13, vcc
	v_cmp_ne_u32_e32 vcc, 0, v1
	v_cndmask_b32_e64 v1, v12, v10, s[2:3]
	s_nop 0
	v_cndmask_b32_e32 v9, v9, v5, vcc
	v_cndmask_b32_e32 v8, v8, v1, vcc
.LBB0_4:                                ;   in Loop: Header=BB0_2 Depth=1
	s_andn2_saveexec_b64 s[2:3], s[20:21]
	s_cbranch_execz .LBB0_6
; %bb.5:                                ;   in Loop: Header=BB0_2 Depth=1
	v_cvt_f32_u32_e32 v1, s18
	s_sub_i32 s20, 0, s18
	v_rcp_iflag_f32_e32 v1, v1
	s_nop 0
	v_mul_f32_e32 v1, 0x4f7ffffe, v1
	v_cvt_u32_f32_e32 v1, v1
	v_mul_lo_u32 v5, s20, v1
	v_mul_hi_u32 v5, v1, v5
	v_add_u32_e32 v1, v1, v5
	v_mul_hi_u32 v1, v6, v1
	v_mul_lo_u32 v5, v1, s18
	v_sub_u32_e32 v5, v6, v5
	v_add_u32_e32 v8, 1, v1
	v_subrev_u32_e32 v9, s18, v5
	v_cmp_le_u32_e32 vcc, s18, v5
	s_nop 1
	v_cndmask_b32_e32 v5, v5, v9, vcc
	v_cndmask_b32_e32 v1, v1, v8, vcc
	v_add_u32_e32 v8, 1, v1
	v_cmp_le_u32_e32 vcc, s18, v5
	v_mov_b32_e32 v9, v4
	s_nop 0
	v_cndmask_b32_e32 v8, v1, v8, vcc
.LBB0_6:                                ;   in Loop: Header=BB0_2 Depth=1
	s_or_b64 exec, exec, s[2:3]
	v_mad_u64_u32 v[10:11], s[2:3], v8, s18, 0
	s_load_dwordx2 s[2:3], s[12:13], 0x0
	v_mul_lo_u32 v1, v9, s18
	v_mul_lo_u32 v5, v8, s19
	v_add3_u32 v1, v11, v5, v1
	v_sub_co_u32_e32 v5, vcc, v6, v10
	s_add_u32 s14, s14, 1
	s_nop 0
	v_subb_co_u32_e32 v1, vcc, v7, v1, vcc
	s_addc_u32 s15, s15, 0
	s_waitcnt lgkmcnt(0)
	v_mul_lo_u32 v1, s2, v1
	v_mul_lo_u32 v6, s3, v5
	v_mad_u64_u32 v[2:3], s[2:3], s2, v5, v[2:3]
	s_add_u32 s12, s12, 8
	v_add3_u32 v3, v6, v3, v1
	s_addc_u32 s13, s13, 0
	v_mov_b64_e32 v[6:7], s[6:7]
	s_add_u32 s16, s16, 8
	v_cmp_ge_u64_e32 vcc, s[14:15], v[6:7]
	s_addc_u32 s17, s17, 0
	s_cbranch_vccnz .LBB0_9
; %bb.7:                                ;   in Loop: Header=BB0_2 Depth=1
	v_mov_b64_e32 v[6:7], v[8:9]
	s_branch .LBB0_2
.LBB0_8:
	v_mov_b64_e32 v[8:9], v[6:7]
.LBB0_9:
	s_lshl_b64 s[2:3], s[6:7], 3
	s_add_u32 s2, s10, s2
	s_addc_u32 s3, s11, s3
	s_load_dwordx2 s[6:7], s[2:3], 0x0
	s_load_dwordx2 s[10:11], s[0:1], 0x20
	s_mov_b32 s2, 0x5d1745e
	v_mov_b32_e32 v14, 0
	v_mov_b32_e32 v15, v14
	s_waitcnt lgkmcnt(0)
	v_mul_lo_u32 v1, s6, v9
	v_mul_lo_u32 v4, s7, v8
	v_mad_u64_u32 v[2:3], s[0:1], s6, v8, v[2:3]
	v_add3_u32 v3, v4, v3, v1
	v_mul_hi_u32 v1, v0, s2
	v_mul_u32_u24_e32 v1, 44, v1
	v_cmp_gt_u64_e64 s[0:1], s[10:11], v[8:9]
	v_sub_u32_e32 v24, v0, v1
	v_lshl_add_u64 v[26:27], v[2:3], 3, s[8:9]
                                        ; implicit-def: $vgpr4
                                        ; implicit-def: $vgpr8
                                        ; implicit-def: $vgpr12
                                        ; implicit-def: $vgpr0
                                        ; implicit-def: $vgpr30
                                        ; implicit-def: $vgpr6
                                        ; implicit-def: $vgpr2
                                        ; implicit-def: $vgpr10
                                        ; implicit-def: $vgpr18
                                        ; implicit-def: $vgpr16
                                        ; implicit-def: $vgpr20
                                        ; implicit-def: $vgpr22
                                        ; implicit-def: $vgpr28
                                        ; implicit-def: $vgpr32
                                        ; implicit-def: $vgpr34
                                        ; implicit-def: $vgpr36
                                        ; implicit-def: $vgpr42
                                        ; implicit-def: $vgpr38
                                        ; implicit-def: $vgpr46
                                        ; implicit-def: $vgpr40
                                        ; implicit-def: $vgpr44
	s_and_saveexec_b64 s[2:3], s[0:1]
	s_cbranch_execz .LBB0_13
; %bb.10:
	v_mov_b32_e32 v25, 0
	v_lshl_add_u64 v[48:49], v[24:25], 3, v[26:27]
	v_add_co_u32_e32 v12, vcc, 0x1000, v48
	global_load_dwordx2 v[2:3], v[48:49], off offset:4048
	s_nop 0
	v_addc_co_u32_e32 v13, vcc, 0, v49, vcc
	global_load_dwordx2 v[0:1], v[48:49], off
	global_load_dwordx2 v[6:7], v[48:49], off offset:352
	global_load_dwordx2 v[10:11], v[48:49], off offset:704
	;; [unrolled: 1-line block ×18, first 2 shown]
	v_cmp_gt_u32_e32 vcc, 22, v24
	v_mov_b32_e32 v14, v25
                                        ; implicit-def: $vgpr13
	s_and_saveexec_b64 s[6:7], vcc
	s_cbranch_execz .LBB0_12
; %bb.11:
	v_add_co_u32_e32 v50, vcc, 0x1000, v48
	s_nop 1
	v_addc_co_u32_e32 v51, vcc, 0, v49, vcc
	global_load_dwordx2 v[14:15], v[48:49], off offset:3520
	global_load_dwordx2 v[12:13], v[50:51], off offset:3120
	s_waitcnt vmcnt(1)
	v_mov_b32_e32 v25, v15
.LBB0_12:
	s_or_b64 exec, exec, s[6:7]
	v_mov_b32_e32 v15, v25
.LBB0_13:
	s_or_b64 exec, exec, s[2:3]
	s_waitcnt vmcnt(5)
	v_sub_f32_e32 v49, v0, v30
	v_fma_f32 v48, v0, 2.0, -v49
	v_sub_f32_e32 v51, v6, v2
	v_lshl_add_u32 v2, v24, 3, 0
	ds_write_b64 v2, v[48:49]
	s_waitcnt vmcnt(3)
	v_sub_f32_e32 v49, v36, v42
	v_sub_f32_e32 v57, v22, v28
	v_fma_f32 v48, v36, 2.0, -v49
	v_add_u32_e32 v36, 0x108, v24
	v_fma_f32 v56, v22, 2.0, -v57
	v_lshl_add_u32 v22, v36, 3, 0
	ds_write_b64 v22, v[48:49]
	s_waitcnt vmcnt(2)
	v_sub_f32_e32 v49, v38, v46
	v_add_u32_e32 v28, 0x134, v24
	v_fma_f32 v48, v38, 2.0, -v49
	v_lshl_add_u32 v38, v28, 3, 0
	ds_write_b64 v38, v[48:49]
	s_waitcnt vmcnt(1)
	v_sub_f32_e32 v49, v40, v8
	v_add_u32_e32 v30, 0x160, v24
	v_sub_f32_e32 v53, v10, v18
	v_sub_f32_e32 v59, v32, v34
	v_add_u32_e32 v71, 0x58, v24
	v_fma_f32 v48, v40, 2.0, -v49
	v_lshl_add_u32 v8, v30, 3, 0
	v_fma_f32 v52, v10, 2.0, -v53
	v_sub_f32_e32 v55, v16, v20
	v_fma_f32 v58, v32, 2.0, -v59
	v_add_u32_e32 v70, 44, v24
	v_lshl_add_u32 v10, v71, 3, 0
	v_add_u32_e32 v74, 0x84, v24
	v_add_u32_e32 v73, 0xb0, v24
	v_add_u32_e32 v72, 0xdc, v24
	ds_write_b64 v8, v[48:49]
	s_waitcnt vmcnt(0)
	v_sub_f32_e32 v49, v44, v4
	v_add_u32_e32 v34, 0x18c, v24
	v_pk_add_f32 v[12:13], v[14:15], v[12:13] neg_lo:[0,1] neg_hi:[0,1]
	v_add_u32_e32 v32, 0x1b8, v24
	v_fma_f32 v50, v6, 2.0, -v51
	v_fma_f32 v54, v16, 2.0, -v55
	v_lshl_add_u32 v6, v70, 3, 0
	ds_write_b64 v10, v[52:53]
	v_lshl_add_u32 v16, v74, 3, 0
	v_lshl_add_u32 v18, v73, 3, 0
	;; [unrolled: 1-line block ×3, first 2 shown]
	v_fma_f32 v48, v44, 2.0, -v49
	v_lshl_add_u32 v40, v34, 3, 0
	v_cmp_gt_u32_e32 vcc, 22, v24
	v_lshl_add_u32 v4, v32, 3, 0
	v_fma_f32 v52, v14, 2.0, -v12
	ds_write_b64 v6, v[50:51]
	ds_write_b64 v16, v[54:55]
	;; [unrolled: 1-line block ×5, first 2 shown]
	s_and_saveexec_b64 s[2:3], vcc
	s_cbranch_execz .LBB0_15
; %bb.14:
	v_mov_b32_e32 v53, v12
	ds_write_b64 v4, v[52:53]
.LBB0_15:
	s_or_b64 exec, exec, s[2:3]
	v_lshl_add_u32 v25, v24, 2, 0
	v_add_u32_e32 v0, 0x400, v25
	v_add_u32_e32 v14, 0x800, v25
	s_waitcnt lgkmcnt(0)
	; wave barrier
	s_waitcnt lgkmcnt(0)
	ds_read2_b32 v[60:61], v25 offset1:44
	ds_read2_b32 v[58:59], v0 offset0:206 offset1:250
	ds_read2_b32 v[62:63], v25 offset0:88 offset1:132
	ds_read2_b32 v[56:57], v14 offset0:38 offset1:82
	ds_read2_b32 v[64:65], v25 offset0:176 offset1:220
	ds_read2_b32 v[54:55], v14 offset0:126 offset1:170
	ds_read2_b32 v[66:67], v0 offset0:8 offset1:52
	v_add_u32_e32 v14, 0xa00, v25
	ds_read2_b32 v[50:51], v14 offset0:86 offset1:130
	ds_read2_b32 v[68:69], v0 offset0:96 offset1:140
	v_add_u32_e32 v0, 0xc00, v25
	ds_read2_b32 v[48:49], v0 offset0:46 offset1:90
	s_and_saveexec_b64 s[2:3], vcc
	s_cbranch_execz .LBB0_17
; %bb.16:
	ds_read_b32 v52, v25 offset:1760
	ds_read_b32 v12, v25 offset:3608
.LBB0_17:
	s_or_b64 exec, exec, s[2:3]
	v_sub_f32_e32 v77, v1, v31
	v_fma_f32 v76, v1, 2.0, -v77
	v_sub_f32_e32 v79, v7, v3
	v_sub_f32_e32 v81, v11, v19
	;; [unrolled: 1-line block ×9, first 2 shown]
	v_fma_f32 v0, v15, 2.0, -v13
	v_fma_f32 v78, v7, 2.0, -v79
	;; [unrolled: 1-line block ×10, first 2 shown]
	s_waitcnt lgkmcnt(0)
	; wave barrier
	s_waitcnt lgkmcnt(0)
	ds_write_b64 v2, v[76:77]
	ds_write_b64 v6, v[78:79]
	;; [unrolled: 1-line block ×10, first 2 shown]
	s_and_saveexec_b64 s[2:3], vcc
	s_cbranch_execz .LBB0_19
; %bb.18:
	v_mov_b32_e32 v1, v13
	ds_write_b64 v4, v[0:1]
.LBB0_19:
	s_or_b64 exec, exec, s[2:3]
	v_add_u32_e32 v1, 0x400, v25
	v_add_u32_e32 v2, 0x800, v25
	s_waitcnt lgkmcnt(0)
	; wave barrier
	s_waitcnt lgkmcnt(0)
	ds_read2_b32 v[10:11], v25 offset1:44
	ds_read2_b32 v[22:23], v1 offset0:206 offset1:250
	ds_read2_b32 v[8:9], v25 offset0:88 offset1:132
	;; [unrolled: 1-line block ×6, first 2 shown]
	v_add_u32_e32 v2, 0xa00, v25
	ds_read2_b32 v[16:17], v2 offset0:86 offset1:130
	ds_read2_b32 v[2:3], v1 offset0:96 offset1:140
	v_add_u32_e32 v1, 0xc00, v25
	ds_read2_b32 v[14:15], v1 offset0:46 offset1:90
	v_lshlrev_b32_e32 v29, 1, v24
	v_lshlrev_b32_e32 v33, 1, v70
	;; [unrolled: 1-line block ×10, first 2 shown]
	s_and_saveexec_b64 s[2:3], vcc
	s_cbranch_execz .LBB0_21
; %bb.20:
	ds_read_b32 v0, v25 offset:1760
	ds_read_b32 v13, v25 offset:3608
.LBB0_21:
	s_or_b64 exec, exec, s[2:3]
	v_and_b32_e32 v1, 1, v24
	v_lshlrev_b32_e32 v30, 3, v1
	global_load_dwordx2 v[30:31], v30, s[4:5]
	s_movk_i32 s6, 0x3fc
	s_movk_i32 s2, 0x7c
	s_movk_i32 s3, 0xfc
	s_movk_i32 s7, 0x1fc
	v_and_or_b32 v28, v28, s6, v1
	s_movk_i32 s8, 0x2fc
	v_and_or_b32 v29, v29, s2, v1
	v_and_or_b32 v33, v33, s3, v1
	;; [unrolled: 1-line block ×5, first 2 shown]
	v_lshl_add_u32 v47, v28, 2, 0
	v_and_or_b32 v43, v39, s6, v1
	v_and_or_b32 v44, v42, s8, v1
	;; [unrolled: 1-line block ×4, first 2 shown]
	v_lshl_add_u32 v38, v29, 2, 0
	v_lshl_add_u32 v39, v33, 2, 0
	;; [unrolled: 1-line block ×5, first 2 shown]
	s_waitcnt lgkmcnt(0)
	; wave barrier
	s_waitcnt lgkmcnt(0)
	v_lshl_add_u32 v43, v43, 2, 0
	v_lshl_add_u32 v44, v44, 2, 0
	;; [unrolled: 1-line block ×4, first 2 shown]
	s_waitcnt vmcnt(0)
	v_mul_f32_e32 v28, v22, v31
	v_mul_f32_e32 v29, v23, v31
	;; [unrolled: 1-line block ×10, first 2 shown]
	v_fma_f32 v28, v58, v30, -v28
	v_mul_f32_e32 v78, v13, v31
	v_fma_f32 v29, v59, v30, -v29
	v_fma_f32 v33, v56, v30, -v33
	;; [unrolled: 1-line block ×9, first 2 shown]
	v_sub_f32_e32 v79, v60, v28
	v_fma_f32 v78, v12, v30, -v78
	v_sub_f32_e32 v29, v61, v29
	v_sub_f32_e32 v33, v62, v33
	;; [unrolled: 1-line block ×9, first 2 shown]
	v_fma_f32 v60, v60, 2.0, -v79
	v_sub_f32_e32 v28, v52, v78
	v_fma_f32 v61, v61, 2.0, -v29
	v_fma_f32 v62, v62, 2.0, -v33
	;; [unrolled: 1-line block ×9, first 2 shown]
	ds_write2_b32 v38, v60, v79 offset1:2
	ds_write2_b32 v39, v61, v29 offset1:2
	ds_write2_b32 v40, v62, v33 offset1:2
	ds_write2_b32 v41, v63, v34 offset1:2
	ds_write2_b32 v42, v64, v35 offset1:2
	ds_write2_b32 v43, v65, v37 offset1:2
	ds_write2_b32 v44, v66, v53 offset1:2
	ds_write2_b32 v45, v67, v75 offset1:2
	ds_write2_b32 v46, v68, v76 offset1:2
	ds_write2_b32 v47, v69, v77 offset1:2
	v_lshlrev_b32_e32 v53, 1, v32
	s_and_saveexec_b64 s[2:3], vcc
	s_cbranch_execz .LBB0_23
; %bb.22:
	v_and_or_b32 v29, v53, s6, v1
	v_lshl_add_u32 v29, v29, 2, 0
	v_fma_f32 v32, v52, 2.0, -v28
	ds_write2_b32 v29, v32, v28 offset1:2
.LBB0_23:
	s_or_b64 exec, exec, s[2:3]
	v_mul_f32_e32 v29, v58, v31
	v_fmac_f32_e32 v29, v22, v30
	v_mul_f32_e32 v22, v59, v31
	v_fmac_f32_e32 v22, v23, v30
	;; [unrolled: 2-line block ×11, first 2 shown]
	v_sub_f32_e32 v13, v10, v29
	v_sub_f32_e32 v49, v8, v23
	v_sub_f32_e32 v52, v9, v20
	v_sub_f32_e32 v57, v4, v19
	v_sub_f32_e32 v59, v5, v16
	v_sub_f32_e32 v61, v2, v17
	v_sub_f32_e32 v63, v3, v14
	v_add_u32_e32 v31, 0x400, v25
	v_add_u32_e32 v29, 0x800, v25
	v_sub_f32_e32 v48, v11, v22
	v_fma_f32 v50, v8, 2.0, -v49
	v_fma_f32 v54, v9, 2.0, -v52
	v_sub_f32_e32 v55, v6, v21
	v_fma_f32 v58, v4, 2.0, -v57
	v_fma_f32 v60, v5, 2.0, -v59
	;; [unrolled: 1-line block ×4, first 2 shown]
	s_waitcnt lgkmcnt(0)
	; wave barrier
	s_waitcnt lgkmcnt(0)
	ds_read2_b32 v[14:15], v25 offset1:44
	ds_read2_b32 v[2:3], v31 offset0:8 offset1:52
	ds_read2_b32 v[34:35], v29 offset0:104 offset1:148
	;; [unrolled: 1-line block ×7, first 2 shown]
	v_add_u32_e32 v51, 0xc00, v25
	v_sub_f32_e32 v56, v7, v18
	ds_read2_b32 v[18:19], v51 offset0:24 offset1:68
	ds_read2_b32 v[16:17], v29 offset0:16 offset1:60
	ds_read_b32 v37, v25 offset:3520
	v_fma_f32 v10, v10, 2.0, -v13
	v_sub_f32_e32 v30, v0, v12
	v_fma_f32 v11, v11, 2.0, -v48
	v_fma_f32 v6, v6, 2.0, -v55
	;; [unrolled: 1-line block ×3, first 2 shown]
	s_waitcnt lgkmcnt(0)
	; wave barrier
	s_waitcnt lgkmcnt(0)
	ds_write2_b32 v38, v10, v13 offset1:2
	ds_write2_b32 v39, v11, v48 offset1:2
	;; [unrolled: 1-line block ×10, first 2 shown]
	s_and_saveexec_b64 s[2:3], vcc
	s_cbranch_execz .LBB0_25
; %bb.24:
	v_and_or_b32 v1, v53, s6, v1
	v_fma_f32 v0, v0, 2.0, -v30
	v_lshl_add_u32 v1, v1, 2, 0
	ds_write2_b32 v1, v0, v30 offset1:2
.LBB0_25:
	s_or_b64 exec, exec, s[2:3]
	v_and_b32_e32 v50, 3, v24
	v_lshlrev_b32_e32 v0, 4, v50
	s_waitcnt lgkmcnt(0)
	; wave barrier
	s_waitcnt lgkmcnt(0)
	global_load_dwordx4 v[38:41], v0, s[4:5] offset:16
	ds_read2_b32 v[10:11], v25 offset1:44
	ds_read2_b32 v[0:1], v31 offset0:8 offset1:52
	ds_read2_b32 v[42:43], v29 offset0:104 offset1:148
	;; [unrolled: 1-line block ×9, first 2 shown]
	ds_read_b32 v56, v25 offset:3520
	s_waitcnt lgkmcnt(0)
	; wave barrier
	s_waitcnt lgkmcnt(0)
	s_movk_i32 s2, 0xab
	s_mov_b32 s3, 0x3f955555
	s_mov_b32 s6, 0x3ee1c552
	;; [unrolled: 1-line block ×7, first 2 shown]
	v_cmp_gt_u32_e32 vcc, 40, v24
	s_waitcnt vmcnt(0)
	v_mul_f32_e32 v57, v1, v39
	v_mul_f32_e32 v59, v42, v41
	;; [unrolled: 1-line block ×17, first 2 shown]
	v_fma_f32 v34, v34, v40, -v59
	v_fma_f32 v3, v3, v38, -v57
	v_mul_f32_e32 v64, v35, v41
	v_mul_f32_e32 v87, v56, v41
	v_fma_f32 v35, v35, v40, -v63
	v_fma_f32 v32, v32, v38, -v61
	;; [unrolled: 1-line block ×3, first 2 shown]
	v_fmac_f32_e32 v62, v44, v38
	v_fmac_f32_e32 v66, v45, v38
	v_fmac_f32_e32 v58, v1, v38
	v_fma_f32 v1, v20, v38, -v69
	v_fmac_f32_e32 v75, v48, v38
	v_fma_f32 v20, v21, v38, -v78
	v_fmac_f32_e32 v79, v49, v38
	v_fma_f32 v16, v16, v38, -v82
	v_fmac_f32_e32 v83, v54, v38
	v_fma_f32 v17, v17, v38, -v86
	v_fmac_f32_e32 v39, v55, v38
	v_add_f32_e32 v38, v3, v34
	v_mul_f32_e32 v67, v46, v41
	v_mul_f32_e32 v68, v22, v41
	;; [unrolled: 1-line block ×9, first 2 shown]
	v_fmac_f32_e32 v60, v42, v40
	v_fmac_f32_e32 v64, v43, v40
	v_fma_f32 v21, v37, v40, -v87
	v_add_f32_e32 v37, v14, v3
	v_fma_f32 v14, -0.5, v38, v14
	v_add_f32_e32 v38, v32, v35
	v_fma_f32 v22, v22, v40, -v67
	v_fma_f32 v23, v23, v40, -v76
	v_fmac_f32_e32 v68, v46, v40
	v_fmac_f32_e32 v77, v47, v40
	v_fma_f32 v18, v18, v40, -v80
	v_fmac_f32_e32 v81, v52, v40
	v_fma_f32 v19, v19, v40, -v84
	v_fmac_f32_e32 v85, v53, v40
	v_fmac_f32_e32 v41, v56, v40
	v_sub_f32_e32 v40, v58, v60
	v_add_f32_e32 v44, v15, v32
	v_fmac_f32_e32 v15, -0.5, v38
	v_sub_f32_e32 v38, v62, v64
	v_sub_f32_e32 v3, v3, v34
	v_add_f32_e32 v34, v37, v34
	v_fmamk_f32 v37, v40, 0x3f5db3d7, v14
	v_fmac_f32_e32 v14, 0xbf5db3d7, v40
	v_fmamk_f32 v40, v38, 0x3f5db3d7, v15
	v_fmac_f32_e32 v15, 0xbf5db3d7, v38
	v_add_f32_e32 v38, v11, v62
	v_add_f32_e32 v43, v58, v60
	;; [unrolled: 1-line block ×5, first 2 shown]
	v_fma_f32 v10, -0.5, v43, v10
	v_fmac_f32_e32 v11, -0.5, v38
	v_sub_f32_e32 v32, v32, v35
	v_add_f32_e32 v38, v33, v22
	v_fmamk_f32 v55, v3, 0xbf5db3d7, v10
	v_fmac_f32_e32 v10, 0x3f5db3d7, v3
	v_add_f32_e32 v3, v44, v35
	v_fmamk_f32 v35, v32, 0xbf5db3d7, v11
	v_fmac_f32_e32 v11, 0x3f5db3d7, v32
	v_add_f32_e32 v32, v8, v33
	v_fma_f32 v8, -0.5, v38, v8
	v_sub_f32_e32 v38, v66, v68
	v_add_f32_e32 v54, v42, v60
	v_fmamk_f32 v42, v38, 0x3f5db3d7, v8
	v_fmac_f32_e32 v8, 0xbf5db3d7, v38
	v_add_f32_e32 v38, v12, v66
	v_add_f32_e32 v57, v38, v68
	;; [unrolled: 1-line block ×4, first 2 shown]
	v_fma_f32 v12, -0.5, v38, v12
	v_sub_f32_e32 v22, v33, v22
	v_add_f32_e32 v33, v1, v23
	v_fmamk_f32 v58, v22, 0xbf5db3d7, v12
	v_fmac_f32_e32 v12, 0x3f5db3d7, v22
	v_add_f32_e32 v22, v9, v1
	v_fmac_f32_e32 v9, -0.5, v33
	v_sub_f32_e32 v33, v75, v77
	v_fmamk_f32 v38, v33, 0x3f5db3d7, v9
	v_fmac_f32_e32 v9, 0xbf5db3d7, v33
	v_add_f32_e32 v33, v13, v75
	v_add_f32_e32 v59, v33, v77
	;; [unrolled: 1-line block ×3, first 2 shown]
	v_fmac_f32_e32 v13, -0.5, v33
	v_sub_f32_e32 v1, v1, v23
	v_add_f32_e32 v33, v20, v18
	v_add_f32_e32 v22, v22, v23
	v_fmamk_f32 v23, v1, 0xbf5db3d7, v13
	v_fmac_f32_e32 v13, 0x3f5db3d7, v1
	v_add_f32_e32 v1, v4, v20
	v_fma_f32 v4, -0.5, v33, v4
	v_sub_f32_e32 v33, v79, v81
	v_fmamk_f32 v43, v33, 0x3f5db3d7, v4
	v_fmac_f32_e32 v4, 0xbf5db3d7, v33
	v_add_f32_e32 v33, v6, v79
	v_add_f32_e32 v60, v33, v81
	v_add_f32_e32 v33, v79, v81
	v_add_f32_e32 v1, v1, v18
	v_fma_f32 v6, -0.5, v33, v6
	v_sub_f32_e32 v18, v20, v18
	v_add_f32_e32 v33, v16, v19
	v_fmamk_f32 v20, v18, 0xbf5db3d7, v6
	v_fmac_f32_e32 v6, 0x3f5db3d7, v18
	v_add_f32_e32 v18, v5, v16
	v_fmac_f32_e32 v5, -0.5, v33
	v_sub_f32_e32 v33, v83, v85
	v_fmamk_f32 v44, v33, 0x3f5db3d7, v5
	v_fmac_f32_e32 v5, 0xbf5db3d7, v33
	v_add_f32_e32 v33, v7, v83
	v_add_f32_e32 v61, v33, v85
	;; [unrolled: 1-line block ×3, first 2 shown]
	v_fmac_f32_e32 v7, -0.5, v33
	v_sub_f32_e32 v16, v16, v19
	v_add_f32_e32 v33, v17, v21
	v_add_f32_e32 v18, v18, v19
	v_fmamk_f32 v19, v16, 0xbf5db3d7, v7
	v_fmac_f32_e32 v7, 0x3f5db3d7, v16
	v_add_f32_e32 v16, v2, v17
	v_fmac_f32_e32 v2, -0.5, v33
	v_sub_f32_e32 v33, v39, v41
	v_fmamk_f32 v45, v33, 0x3f5db3d7, v2
	v_fmac_f32_e32 v2, 0xbf5db3d7, v33
	v_add_f32_e32 v33, v0, v39
	v_add_f32_e32 v62, v33, v41
	v_add_f32_e32 v33, v39, v41
	v_fmac_f32_e32 v0, -0.5, v33
	v_sub_f32_e32 v17, v17, v21
	v_add_f32_e32 v16, v16, v21
	v_fmamk_f32 v21, v17, 0xbf5db3d7, v0
	v_fmac_f32_e32 v0, 0x3f5db3d7, v17
	v_lshrrev_b32_e32 v17, 2, v24
	v_mul_u32_u24_e32 v17, 12, v17
	v_or_b32_e32 v17, v17, v50
	v_lshl_add_u32 v17, v17, 2, 0
	ds_write2_b32 v17, v34, v37 offset1:4
	ds_write_b32 v17, v14 offset:32
	v_lshrrev_b32_e32 v14, 2, v70
	v_mul_u32_u24_e32 v14, 12, v14
	v_or_b32_e32 v14, v14, v50
	v_lshl_add_u32 v14, v14, 2, 0
	ds_write2_b32 v14, v3, v40 offset1:4
	ds_write_b32 v14, v15 offset:32
	;; [unrolled: 6-line block ×5, first 2 shown]
	v_lshrrev_b32_e32 v1, 2, v72
	v_lshrrev_b32_e32 v4, 2, v36
	v_mul_u32_u24_e32 v1, 12, v1
	v_mul_u32_u24_e32 v4, 12, v4
	v_or_b32_e32 v1, v1, v50
	v_or_b32_e32 v4, v4, v50
	v_lshl_add_u32 v1, v1, 2, 0
	v_lshl_add_u32 v4, v4, 2, 0
	ds_write2_b32 v1, v18, v44 offset1:4
	ds_write_b32 v1, v5 offset:32
	ds_write2_b32 v4, v16, v45 offset1:4
	ds_write_b32 v4, v2 offset:32
	s_waitcnt lgkmcnt(0)
	; wave barrier
	s_waitcnt lgkmcnt(0)
	ds_read2_b32 v[32:33], v25 offset1:44
	ds_read2_b32 v[36:37], v25 offset0:88 offset1:132
	ds_read2_b32 v[40:41], v31 offset0:8 offset1:52
	ds_read2_b32 v[44:45], v31 offset0:96 offset1:140
	ds_read2_b32 v[48:49], v29 offset0:16 offset1:60
	ds_read2_b32 v[38:39], v29 offset0:104 offset1:148
	ds_read2_b32 v[52:53], v51 offset0:24 offset1:68
	ds_read2_b32 v[46:47], v25 offset0:176 offset1:220
	ds_read2_b32 v[84:85], v31 offset0:184 offset1:228
	ds_read2_b32 v[42:43], v29 offset0:192 offset1:236
	ds_read_b32 v50, v25 offset:3520
	s_waitcnt lgkmcnt(0)
	; wave barrier
	s_waitcnt lgkmcnt(0)
	ds_write2_b32 v17, v54, v55 offset1:4
	ds_write_b32 v17, v10 offset:32
	ds_write2_b32 v14, v56, v35 offset1:4
	ds_write_b32 v14, v11 offset:32
	;; [unrolled: 2-line block ×7, first 2 shown]
	v_mul_lo_u16_sdwa v0, v24, s2 dst_sel:DWORD dst_unused:UNUSED_PAD src0_sel:BYTE_0 src1_sel:DWORD
	v_lshrrev_b16_e32 v58, 11, v0
	v_mul_lo_u16_e32 v0, 12, v58
	v_sub_u16_e32 v59, v24, v0
	v_mov_b32_e32 v34, 6
	v_mul_u32_u24_sdwa v0, v59, v34 dst_sel:DWORD dst_unused:UNUSED_PAD src0_sel:BYTE_0 src1_sel:DWORD
	v_lshlrev_b32_e32 v0, 3, v0
	s_waitcnt lgkmcnt(0)
	; wave barrier
	s_waitcnt lgkmcnt(0)
	global_load_dwordx4 v[20:23], v0, s[4:5] offset:80
	global_load_dwordx4 v[12:15], v0, s[4:5] offset:96
	;; [unrolled: 1-line block ×3, first 2 shown]
	v_mul_lo_u16_sdwa v0, v70, s2 dst_sel:DWORD dst_unused:UNUSED_PAD src0_sel:BYTE_0 src1_sel:DWORD
	v_lshrrev_b16_e32 v60, 11, v0
	v_mul_lo_u16_e32 v0, 12, v60
	v_sub_u16_e32 v61, v70, v0
	v_mul_u32_u24_sdwa v0, v61, v34 dst_sel:DWORD dst_unused:UNUSED_PAD src0_sel:BYTE_0 src1_sel:DWORD
	v_lshlrev_b32_e32 v35, 3, v0
	global_load_dwordx4 v[4:7], v35, s[4:5] offset:80
	global_load_dwordx4 v[16:19], v35, s[4:5] offset:96
	;; [unrolled: 1-line block ×3, first 2 shown]
	v_mul_lo_u16_sdwa v35, v71, s2 dst_sel:DWORD dst_unused:UNUSED_PAD src0_sel:BYTE_0 src1_sel:DWORD
	v_lshrrev_b16_e32 v100, 11, v35
	v_mul_lo_u16_e32 v35, 12, v100
	v_sub_u16_e32 v101, v71, v35
	v_mul_u32_u24_sdwa v34, v101, v34 dst_sel:DWORD dst_unused:UNUSED_PAD src0_sel:BYTE_0 src1_sel:DWORD
	v_lshlrev_b32_e32 v64, 3, v34
	global_load_dwordx4 v[54:57], v64, s[4:5] offset:80
	global_load_dwordx4 v[76:79], v64, s[4:5] offset:96
	ds_read2_b32 v[34:35], v25 offset0:88 offset1:132
	ds_read2_b32 v[86:87], v31 offset0:8 offset1:52
	;; [unrolled: 1-line block ×8, first 2 shown]
	global_load_dwordx4 v[80:83], v64, s[4:5] offset:112
	s_mov_b32 s2, 0x3f4a47b2
	s_waitcnt vmcnt(8) lgkmcnt(7)
	v_mul_f32_e32 v51, v35, v21
	v_mul_f32_e32 v63, v37, v21
	v_fma_f32 v62, v37, v20, -v51
	v_fmac_f32_e32 v63, v35, v20
	s_waitcnt lgkmcnt(6)
	v_mul_f32_e32 v20, v86, v23
	v_fma_f32 v64, v40, v22, -v20
	s_waitcnt vmcnt(7) lgkmcnt(5)
	v_mul_f32_e32 v20, v89, v13
	v_mul_f32_e32 v67, v45, v13
	v_fma_f32 v66, v45, v12, -v20
	v_fmac_f32_e32 v67, v89, v12
	s_waitcnt lgkmcnt(4)
	v_mul_f32_e32 v12, v90, v15
	v_fma_f32 v68, v48, v14, -v12
	s_waitcnt vmcnt(6) lgkmcnt(3)
	v_mul_f32_e32 v12, v93, v9
	v_mul_f32_e32 v72, v39, v9
	v_fma_f32 v71, v39, v8, -v12
	v_fmac_f32_e32 v72, v93, v8
	s_waitcnt lgkmcnt(2)
	v_mul_f32_e32 v8, v94, v11
	v_mul_f32_e32 v74, v52, v11
	;; [unrolled: 1-line block ×3, first 2 shown]
	v_fma_f32 v73, v52, v10, -v8
	v_fmac_f32_e32 v74, v94, v10
	v_mov_b32_e32 v10, v46
	v_mov_b32_e32 v11, v84
	s_waitcnt vmcnt(5)
	v_mov_b32_e32 v12, v5
	s_waitcnt vmcnt(4)
	v_mov_b32_e32 v13, v17
	v_fmac_f32_e32 v69, v90, v14
	s_waitcnt lgkmcnt(1)
	v_mov_b32_e32 v8, v96
	s_waitcnt lgkmcnt(0)
	v_mov_b32_e32 v9, v98
	v_pk_mul_f32 v[10:11], v[10:11], v[12:13]
	v_mov_b32_e32 v12, v4
	v_mov_b32_e32 v13, v16
	;; [unrolled: 1-line block ×4, first 2 shown]
	s_waitcnt vmcnt(3)
	v_mov_b32_e32 v16, v3
	v_pk_fma_f32 v[10:11], v[8:9], v[12:13], v[10:11]
	v_mov_b32_e32 v8, v53
	v_mov_b32_e32 v9, v84
	;; [unrolled: 1-line block ×3, first 2 shown]
	v_pk_mul_f32 v[14:15], v[14:15], v[16:17]
	v_mov_b32_e32 v90, v96
	v_pk_fma_f32 v[14:15], v[8:9], v[12:13], v[14:15] neg_lo:[0,0,1] neg_hi:[0,0,1]
	v_mov_b32_e32 v8, v4
	v_mov_b32_e32 v4, v5
	;; [unrolled: 1-line block ×5, first 2 shown]
	v_pk_mul_f32 v[4:5], v[90:91], v[4:5]
	v_mov_b32_e32 v90, v95
	v_pk_fma_f32 v[16:17], v[48:49], v[8:9], v[4:5] neg_lo:[0,0,1] neg_hi:[0,0,1]
	v_mov_b32_e32 v48, v53
	v_mov_b32_e32 v5, v18
	;; [unrolled: 1-line block ×3, first 2 shown]
	v_pk_mul_f32 v[8:9], v[48:49], v[18:19]
	v_mov_b32_e32 v4, v2
	v_pk_fma_f32 v[20:21], v[90:91], v[4:5], v[8:9]
	v_mov_b32_e32 v4, v97
	v_mov_b32_e32 v5, v92
	s_waitcnt vmcnt(2)
	v_mov_b32_e32 v8, v55
	s_waitcnt vmcnt(1)
	v_mov_b32_e32 v9, v79
	v_mul_f32_e32 v65, v40, v23
	v_mov_b32_e32 v2, v47
	v_mov_b32_e32 v3, v38
	v_pk_mul_f32 v[4:5], v[4:5], v[8:9]
	v_mov_b32_e32 v8, v54
	v_mov_b32_e32 v9, v78
	v_fmac_f32_e32 v65, v86, v22
	v_pk_fma_f32 v[22:23], v[2:3], v[8:9], v[4:5] neg_lo:[0,0,1] neg_hi:[0,0,1]
	ds_read_b32 v8, v25 offset:3520
	v_mov_b32_e32 v4, v57
	v_mov_b32_e32 v89, v87
	;; [unrolled: 1-line block ×4, first 2 shown]
	v_pk_mul_f32 v[4:5], v[88:89], v[4:5]
	v_mov_b32_e32 v45, v41
	v_mov_b32_e32 v3, v6
	v_mul_f32_e32 v35, v47, v55
	v_pk_fma_f32 v[46:47], v[44:45], v[2:3], v[4:5] neg_lo:[0,0,1] neg_hi:[0,0,1]
	v_mov_b32_e32 v9, v99
	s_waitcnt vmcnt(0)
	v_mov_b32_e32 v4, v83
	v_mov_b32_e32 v5, v77
	ds_read2_b32 v[12:13], v29 offset0:192 offset1:236
	v_mov_b32_e32 v51, v85
	v_mov_b32_e32 v2, v82
	;; [unrolled: 1-line block ×3, first 2 shown]
	s_waitcnt lgkmcnt(1)
	v_pk_mul_f32 v[4:5], v[8:9], v[4:5]
	v_mov_b32_e32 v40, v85
	v_pk_fma_f32 v[48:49], v[50:51], v[2:3], v[4:5] neg_lo:[0,0,1] neg_hi:[0,0,1]
	v_mov_b32_e32 v3, v6
	v_mov_b32_e32 v6, v77
	v_pk_mul_f32 v[4:5], v[40:41], v[6:7]
	v_mov_b32_e32 v86, v99
	v_mov_b32_e32 v2, v76
	v_mul_f32_e32 v75, v50, v83
	v_pk_fma_f32 v[50:51], v[86:87], v[2:3], v[4:5]
	v_mov_b32_e32 v39, v42
	v_mov_b32_e32 v4, v79
	;; [unrolled: 1-line block ×3, first 2 shown]
	s_waitcnt lgkmcnt(0)
	v_mov_b32_e32 v93, v12
	v_mov_b32_e32 v2, v78
	;; [unrolled: 1-line block ×3, first 2 shown]
	v_pk_mul_f32 v[4:5], v[38:39], v[4:5]
	v_fmac_f32_e32 v75, v8, v82
	v_pk_fma_f32 v[52:53], v[92:93], v[2:3], v[4:5]
	v_mov_b32_e32 v5, v0
	v_mov_b32_e32 v8, v13
	;; [unrolled: 1-line block ×7, first 2 shown]
	v_pk_mul_f32 v[0:1], v[8:9], v[0:1]
	v_fmac_f32_e32 v35, v97, v54
	v_pk_fma_f32 v[54:55], v[2:3], v[4:5], v[0:1] neg_lo:[0,0,1] neg_hi:[0,0,1]
	v_mov_b32_e32 v4, v10
	v_mov_b32_e32 v5, v21
	;; [unrolled: 1-line block ×4, first 2 shown]
	v_pk_add_f32 v[2:3], v[50:51], v[52:53] neg_lo:[0,1] neg_hi:[0,1]
	v_pk_add_f32 v[4:5], v[4:5], v[8:9] neg_lo:[0,1] neg_hi:[0,1]
	v_sub_f32_e32 v7, v35, v75
	v_pk_add_f32 v[8:9], v[4:5], v[2:3]
	v_sub_f32_e32 v79, v3, v4
	v_mov_b32_e32 v6, v9
	v_pk_add_f32 v[8:9], v[4:5], v[6:7]
	v_pk_add_f32 v[2:3], v[4:5], v[2:3] neg_lo:[0,1] neg_hi:[0,1]
	v_mul_f32_e32 v19, v44, v57
	v_mul_f32_e32 v45, v43, v81
	v_mov_b32_e32 v9, v3
	v_pk_add_f32 v[2:3], v[14:15], v[16:17]
	v_fmac_f32_e32 v19, v88, v56
	v_fmac_f32_e32 v45, v13, v80
	v_pk_add_f32 v[0:1], v[46:47], v[54:55]
	v_mov_b32_e32 v13, v2
	v_mov_b32_e32 v40, v46
	;; [unrolled: 1-line block ×7, first 2 shown]
	v_pk_add_f32 v[12:13], v[0:1], v[12:13]
	v_mov_b32_e32 v0, v3
	v_pk_add_f32 v[40:41], v[40:41], v[42:43]
	v_pk_add_f32 v[42:43], v[18:19], v[44:45] neg_lo:[0,1] neg_hi:[0,1]
	v_pk_add_f32 v[38:39], v[2:3], v[0:1] neg_lo:[0,1] neg_hi:[0,1]
	v_pk_add_f32 v[12:13], v[2:3], v[12:13]
	v_sub_f32_e32 v37, v3, v1
	v_mov_b32_e32 v0, v42
	v_mov_b32_e32 v3, v2
	;; [unrolled: 1-line block ×4, first 2 shown]
	v_add_f32_e32 v13, v33, v13
	v_pk_add_f32 v[0:1], v[0:1], v[2:3] neg_lo:[0,1] neg_hi:[0,1]
	v_sub_f32_e32 v33, v43, v7
	v_add_f32_e32 v2, v42, v43
	v_mov_b32_e32 v3, v42
	v_pk_add_f32 v[42:43], v[48:49], v[22:23]
	v_mul_f32_e32 v12, 0x3d64c772, v37
	v_add_f32_e32 v44, v2, v7
	v_mov_b32_e32 v6, v41
	v_mov_b32_e32 v2, v43
	v_pk_add_f32 v[56:57], v[6:7], v[2:3] neg_lo:[0,1] neg_hi:[0,1]
	v_pk_add_f32 v[2:3], v[40:41], v[6:7]
	v_pk_fma_f32 v[6:7], v[38:39], s[2:3], v[12:13] neg_lo:[1,0,0] neg_hi:[1,0,0]
	v_mov_b32_e32 v42, v43
	v_mov_b32_e32 v6, v43
	;; [unrolled: 1-line block ×3, first 2 shown]
	v_sub_f32_e32 v82, v40, v41
	v_mov_b32_e32 v41, v5
	v_pk_add_f32 v[4:5], v[42:43], v[40:41] neg_lo:[0,1] neg_hi:[0,1]
	v_pk_mul_f32 v[40:41], v[8:9], s[6:7]
	v_mul_f32_e32 v78, 0x3ee1c552, v44
	v_pk_fma_f32 v[42:43], v[4:5], s[8:9], v[40:41]
	s_nop 0
	v_mov_b32_e32 v18, v43
	v_pk_fma_f32 v[42:43], v[8:9], s[6:7], v[18:19]
	v_mul_f32_e32 v9, 0xbf4a47b2, v38
	v_pk_fma_f32 v[38:39], v[38:39], s[2:3], v[12:13]
	v_mul_f32_e32 v8, 0x3f5ff5aa, v33
	v_mov_b32_e32 v39, v7
	v_mov_b32_e32 v12, v7
	v_pk_add_f32 v[76:77], v[38:39], v[12:13]
	v_mov_b32_e32 v38, v78
	v_pk_fma_f32 v[80:81], v[0:1], s[10:11], v[8:9] neg_lo:[1,0,0] neg_hi:[1,0,0]
	s_mov_b32 s6, 0x3f5ff5aa
	v_pk_add_f32 v[38:39], v[38:39], v[80:81]
	v_pk_mul_f32 v[80:81], v[0:1], s[10:11]
	s_mov_b32 s3, s9
	v_fmac_f32_e32 v81, 0xbd64c772, v37
	v_mov_b32_e32 v3, v81
	v_pk_add_f32 v[6:7], v[2:3], v[6:7]
	v_fma_f32 v2, v79, s6, -v41
	v_add_f32_e32 v37, v40, v2
	v_sub_f32_e32 v12, v7, v37
	v_pk_add_f32 v[2:3], v[36:37], v[6:7]
	v_pk_mul_f32 v[36:37], v[56:57], s[2:3]
	v_mul_f32_e32 v7, 0x3f955555, v6
	v_mov_b32_e32 v6, v37
	v_pk_fma_f32 v[0:1], v[0:1], s[10:11], v[6:7]
	v_mul_f32_e32 v81, 0xbf5ff5aa, v79
	v_mov_b32_e32 v1, v2
	v_mul_f32_e32 v80, 0x3f3bfb3b, v82
	v_pk_add_f32 v[6:7], v[0:1], v[6:7] neg_lo:[0,1] neg_hi:[0,1]
	v_pk_fma_f32 v[80:81], v[4:5], s[8:9], v[80:81] neg_lo:[1,0,0] neg_hi:[1,0,0]
	v_xor_b32_e32 v1, 0x80000000, v8
	v_pk_fma_f32 v[8:9], v[4:5], s[8:9], v[36:37]
	v_pk_mul_f32 v[4:5], v[4:5], s[8:9]
	s_mov_b32 s7, 0xbf3bfb3b
	v_mov_b32_e32 v5, v1
	v_pk_fma_f32 v[4:5], v[56:57], s[2:3], v[4:5] neg_lo:[1,0,0] neg_hi:[1,0,0]
	v_mov_b32_e32 v41, v40
	v_mov_b32_e32 v40, v7
	v_fma_f32 v79, v82, s7, -v36
	v_mov_b32_e32 v9, v5
	v_mov_b32_e32 v1, v7
	;; [unrolled: 1-line block ×4, first 2 shown]
	v_pk_add_f32 v[40:41], v[80:81], v[40:41]
	v_pk_add_f32 v[4:5], v[78:79], v[0:1]
	v_pk_add_f32 v[8:9], v[8:9], v[6:7]
	v_mov_b32_e32 v7, v40
	v_mov_b32_e32 v6, v5
	;; [unrolled: 1-line block ×4, first 2 shown]
	v_add_f32_e32 v18, v62, v73
	v_pk_add_f32 v[6:7], v[6:7], v[36:37] neg_lo:[0,1] neg_hi:[0,1]
	v_add_f32_e32 v36, v64, v71
	v_pk_add_f32 v[0:1], v[40:41], v[38:39]
	v_pk_add_f32 v[56:57], v[38:39], v[40:41] neg_lo:[0,1] neg_hi:[0,1]
	v_add_f32_e32 v37, v66, v68
	v_add_f32_e32 v39, v36, v18
	v_mov_b32_e32 v77, v8
	v_mov_b32_e32 v43, v4
	v_sub_f32_e32 v40, v36, v18
	v_sub_f32_e32 v18, v18, v37
	;; [unrolled: 1-line block ×3, first 2 shown]
	v_add_f32_e32 v37, v37, v39
	v_sub_f32_e32 v39, v65, v72
	v_sub_f32_e32 v41, v69, v67
	;; [unrolled: 1-line block ×3, first 2 shown]
	v_pk_add_f32 v[8:9], v[8:9], v[4:5]
	v_pk_add_f32 v[4:5], v[76:77], v[42:43] neg_lo:[0,1] neg_hi:[0,1]
	v_sub_f32_e32 v43, v41, v39
	v_add_f32_e32 v38, v42, v76
	v_add_f32_e32 v42, v41, v39
	v_sub_f32_e32 v39, v39, v33
	v_mov_b32_e32 v76, 2
	v_mul_f32_e32 v18, 0x3f4a47b2, v18
	v_mul_f32_e32 v43, 0xbf08b237, v43
	v_sub_f32_e32 v41, v33, v41
	v_add_f32_e32 v42, v42, v33
	v_add_f32_e32 v44, v32, v37
	v_mul_u32_u24_e32 v32, 0x150, v58
	v_lshlrev_b32_sdwa v33, v76, v59 dst_sel:DWORD dst_unused:UNUSED_PAD src0_sel:DWORD src1_sel:BYTE_0
	v_fma_f32 v58, v40, s7, -v18
	v_fmac_f32_e32 v18, 0x3d64c772, v36
	v_fma_f32 v59, v39, s6, -v43
	v_mul_f32_e32 v36, 0xbd64c772, v36
	v_mul_f32_e32 v39, 0xbf5ff5aa, v39
	v_fmamk_f32 v37, v37, 0xbf955555, v44
	v_fmac_f32_e32 v43, 0x3eae86e6, v41
	v_fmac_f32_e32 v36, 0x3f3bfb3b, v40
	v_fmamk_f32 v39, v41, 0xbeae86e6, v39
	v_add_f32_e32 v18, v18, v37
	v_fmac_f32_e32 v43, 0x3ee1c552, v42
	v_add_f32_e32 v36, v36, v37
	v_add_f32_e32 v37, v58, v37
	v_fmac_f32_e32 v59, 0x3ee1c552, v42
	v_fmac_f32_e32 v39, 0x3ee1c552, v42
	v_add3_u32 v56, 0, v32, v33
	v_add_f32_e32 v77, v43, v18
	v_sub_f32_e32 v40, v36, v59
	v_add_f32_e32 v36, v59, v36
	v_add_f32_e32 v41, v39, v37
	v_sub_f32_e32 v18, v18, v43
	ds_read2_b32 v[32:33], v25 offset1:44
	s_waitcnt lgkmcnt(0)
	; wave barrier
	s_waitcnt lgkmcnt(0)
	ds_write2_b32 v56, v44, v77 offset1:12
	v_sub_f32_e32 v37, v37, v39
	ds_write2_b32 v56, v41, v40 offset0:24 offset1:36
	ds_write2_b32 v56, v36, v37 offset0:48 offset1:60
	ds_write_b32 v56, v18 offset:288
	v_mul_u32_u24_e32 v18, 0x150, v60
	v_lshlrev_b32_sdwa v36, v76, v61 dst_sel:DWORD dst_unused:UNUSED_PAD src0_sel:DWORD src1_sel:BYTE_0
	v_add3_u32 v58, 0, v18, v36
	ds_write2_b32 v58, v13, v38 offset1:12
	ds_write2_b32 v58, v1, v12 offset0:24 offset1:36
	ds_write2_b32 v58, v3, v57 offset0:48 offset1:60
	ds_write_b32 v58, v4 offset:288
	v_mul_u32_u24_e32 v1, 0x150, v100
	v_lshlrev_b32_sdwa v12, v76, v101 dst_sel:DWORD dst_unused:UNUSED_PAD src0_sel:DWORD src1_sel:BYTE_0
	v_add3_u32 v59, 0, v1, v12
	v_add_u32_e32 v1, 0x600, v25
	ds_write2_b32 v59, v2, v8 offset1:12
	ds_write2_b32 v59, v9, v7 offset0:24 offset1:36
	ds_write2_b32 v59, v0, v6 offset0:48 offset1:60
	ds_write_b32 v59, v5 offset:288
	s_waitcnt lgkmcnt(0)
	; wave barrier
	s_waitcnt lgkmcnt(0)
	ds_read2_b32 v[12:13], v25 offset1:84
	ds_read2_b32 v[40:41], v25 offset0:168 offset1:252
	ds_read2_b32 v[38:39], v31 offset0:80 offset1:164
	;; [unrolled: 1-line block ×4, first 2 shown]
	ds_read_b32 v44, v25 offset:3360
	v_cmp_lt_u32_e64 s[2:3], 39, v24
	s_and_saveexec_b64 s[6:7], s[2:3]
	s_xor_b64 s[6:7], exec, s[6:7]
; %bb.26:
	v_mov_b32_e32 v1, v57
; %bb.27:
	s_andn2_saveexec_b64 s[6:7], s[6:7]
	s_cbranch_execz .LBB0_29
; %bb.28:
	v_add_u32_e32 v2, 0x200, v25
	ds_read2_b32 v[4:5], v2 offset0:84 offset1:168
	v_add_u32_e32 v2, 0x400, v25
	ds_read2_b32 v[8:9], v2 offset0:124 offset1:208
	;; [unrolled: 2-line block ×3, first 2 shown]
	ds_read2_b32 v[60:61], v2 offset0:36 offset1:120
	v_add_u32_e32 v2, 0xa00, v25
	ds_read2_b32 v[6:7], v2 offset0:76 offset1:160
	ds_read_b32 v28, v25 offset:3536
	s_waitcnt lgkmcnt(5)
	v_mov_b32_e32 v2, v5
	s_waitcnt lgkmcnt(3)
	v_mov_b32_e32 v3, v0
	;; [unrolled: 2-line block ×4, first 2 shown]
	v_mov_b32_e32 v7, v60
.LBB0_29:
	s_or_b64 exec, exec, s[6:7]
	v_add_f32_e32 v18, v63, v74
	v_add_f32_e32 v31, v65, v72
	v_sub_f32_e32 v29, v62, v73
	v_sub_f32_e32 v57, v64, v71
	v_add_f32_e32 v60, v67, v69
	v_sub_f32_e32 v61, v68, v66
	v_add_f32_e32 v62, v31, v18
	v_sub_f32_e32 v63, v31, v18
	v_sub_f32_e32 v18, v18, v60
	;; [unrolled: 1-line block ×4, first 2 shown]
	v_add_f32_e32 v60, v60, v62
	v_add_f32_e32 v64, v61, v57
	v_sub_f32_e32 v61, v29, v61
	v_sub_f32_e32 v57, v57, v29
	v_add_f32_e32 v71, v32, v60
	v_mul_f32_e32 v18, 0x3f4a47b2, v18
	v_mul_f32_e32 v32, 0x3d64c772, v31
	;; [unrolled: 1-line block ×3, first 2 shown]
	s_mov_b32 s11, 0x3f5ff5aa
	s_mov_b32 s12, 0x3f3bfb3b
	s_mov_b32 s14, 0xbf3bfb3b
	v_add_f32_e32 v29, v64, v29
	v_mul_f32_e32 v64, 0x3f5ff5aa, v57
	v_fmamk_f32 v60, v60, 0xbf955555, v71
	s_mov_b32 s13, 0x3f955555
	v_fma_f32 v32, v63, s12, -v32
	v_fma_f32 v63, v63, s14, -v18
	v_fmac_f32_e32 v18, 0x3d64c772, v31
	v_fma_f32 v31, v57, s11, -v62
	v_fmac_f32_e32 v62, 0x3eae86e6, v61
	s_mov_b32 s10, 0xbeae86e6
	v_fma_f32 v57, v61, s10, -v64
	v_add_f32_e32 v18, v18, v60
	v_fmac_f32_e32 v62, 0x3ee1c552, v29
	v_fmac_f32_e32 v31, 0x3ee1c552, v29
	;; [unrolled: 1-line block ×3, first 2 shown]
	v_sub_f32_e32 v29, v18, v62
	v_add_f32_e32 v74, v62, v18
	v_pk_add_f32 v[10:11], v[10:11], v[20:21]
	v_add_f32_e32 v18, v35, v75
	v_add_f32_e32 v21, v19, v45
	v_pk_add_f32 v[22:23], v[22:23], v[48:49] neg_lo:[0,1] neg_hi:[0,1]
	v_sub_f32_e32 v45, v21, v18
	v_pk_add_f32 v[48:49], v[50:51], v[52:53]
	v_mov_b32_e32 v19, v10
	v_pk_add_f32 v[16:17], v[16:17], v[14:15] neg_lo:[0,1] neg_hi:[0,1]
	v_mul_f32_e32 v15, 0x3f3bfb3b, v45
	v_pk_add_f32 v[50:51], v[48:49], v[18:19]
	v_pk_add_f32 v[46:47], v[46:47], v[54:55] neg_lo:[0,1] neg_hi:[0,1]
	v_mov_b32_e32 v14, v49
	s_mov_b32 s8, 0x3f4a47b2
	s_mov_b32 s6, 0x3eae86e6
	v_add_f32_e32 v32, v32, v60
	v_add_f32_e32 v60, v63, v60
	v_sub_f32_e32 v64, v10, v11
	v_mov_b32_e32 v52, v17
	v_mov_b32_e32 v53, v47
	v_pk_add_f32 v[54:55], v[14:15], v[10:11] neg_lo:[0,1] neg_hi:[0,1]
	v_pk_add_f32 v[50:51], v[50:51], v[10:11]
	v_mov_b32_e32 v19, v11
	s_mov_b32 s9, 0x3d64c772
	s_mov_b32 s7, 0xbf08b237
	v_sub_f32_e32 v72, v60, v57
	v_add_f32_e32 v57, v57, v60
	v_mul_f32_e32 v60, 0xbf4a47b2, v64
	v_add_f32_e32 v20, v21, v18
	v_pk_add_f32 v[52:53], v[16:17], v[52:53] neg_lo:[0,1] neg_hi:[0,1]
	v_sub_f32_e32 v35, v47, v16
	v_mov_b32_e32 v55, v51
	v_add_f32_e32 v61, v33, v51
	v_pk_add_f32 v[10:11], v[18:19], v[48:49] neg_lo:[0,1] neg_hi:[0,1]
	v_add_f32_e32 v73, v31, v32
	v_sub_f32_e32 v31, v32, v31
	v_pk_mul_f32 v[32:33], v[54:55], s[12:13]
	v_pk_mul_f32 v[50:51], v[52:53], s[6:7]
	v_mul_f32_e32 v14, 0x3f5ff5aa, v35
	v_pk_mul_f32 v[62:63], v[10:11], s[8:9]
	v_pk_fma_f32 v[54:55], v[54:55], s[12:13], v[60:61] neg_lo:[1,0,0] neg_hi:[1,0,0]
	v_pk_add_f32 v[68:69], v[48:49], v[20:21] op_sel_hi:[0,1]
	v_pk_add_f32 v[20:21], v[48:49], v[20:21] op_sel_hi:[0,1] neg_lo:[0,1] neg_hi:[0,1]
	s_mov_b32 s12, s13
	s_mov_b32 s13, s9
	v_fmamk_f32 v19, v64, 0x3f4a47b2, v63
	v_xor_b32_e32 v64, 0x80000000, v14
	v_mov_b32_e32 v65, v50
	v_mov_b32_e32 v66, v23
	;; [unrolled: 1-line block ×4, first 2 shown]
	v_pk_mul_f32 v[20:21], v[20:21], s[12:13]
	v_fma_f32 v60, v35, s11, -v51
	v_pk_fma_f32 v[50:51], v[52:53], s[6:7], v[64:65] neg_lo:[1,0,0] neg_hi:[1,0,0]
	v_pk_fma_f32 v[52:53], v[52:53], s[6:7], v[64:65]
	v_pk_add_f32 v[66:67], v[22:23], v[66:67] neg_lo:[0,1] neg_hi:[0,1]
	v_mov_b32_e32 v20, v21
	v_mov_b32_e32 v21, v32
	;; [unrolled: 1-line block ×5, first 2 shown]
	v_add_f32_e32 v14, v34, v68
	v_pk_mul_f32 v[34:35], v[66:67], s[6:7]
	v_pk_fma_f32 v[32:33], v[10:11], s[8:9], v[20:21] neg_lo:[1,0,0] neg_hi:[1,0,0]
	v_pk_add_f32 v[52:53], v[52:53], v[46:47]
	v_mov_b32_e32 v64, v22
	v_mov_b32_e32 v65, v16
	v_pk_fma_f32 v[10:11], v[10:11], s[8:9], v[20:21]
	v_pk_fma_f32 v[20:21], v[68:69], s[12:13], v[14:15] neg_lo:[1,0,0] neg_hi:[1,0,0]
	v_mov_b32_e32 v32, v35
	v_sub_f32_e32 v15, v46, v22
	s_mov_b32 s10, 0x3ee1c552
	v_mov_b32_e32 v18, v55
	v_pk_add_f32 v[16:17], v[52:53], v[64:65]
	v_mov_b32_e32 v11, v33
	v_pk_fma_f32 v[32:33], v[66:67], s[6:7], v[32:33]
	v_mul_f32_e32 v22, 0x3f5ff5aa, v15
	v_pk_add_f32 v[18:19], v[54:55], v[18:19]
	v_pk_mul_f32 v[52:53], v[16:17], s[10:11] op_sel_hi:[1,0]
	v_mov_b32_e32 v54, v20
	v_mov_b32_e32 v33, v60
	v_fma_f32 v34, v45, s14, -v62
	v_pk_fma_f32 v[22:23], v[66:67], s[6:7], v[22:23] op_sel_hi:[1,1,0] neg_lo:[1,0,1] neg_hi:[1,0,0]
	v_mov_b32_e32 v35, v20
	v_pk_add_f32 v[50:51], v[52:53], v[50:51] op_sel:[1,0]
	v_pk_add_f32 v[10:11], v[10:11], v[54:55]
	v_pk_fma_f32 v[16:17], v[16:17], s[10:11], v[32:33] op_sel_hi:[1,0,1]
	v_pk_add_f32 v[34:35], v[20:21], v[34:35]
	v_pk_add_f32 v[22:23], v[52:53], v[22:23] op_sel_hi:[0,1]
	v_add_u32_e32 v15, 0x400, v25
	v_pk_add_f32 v[64:65], v[18:19], v[50:51] neg_lo:[0,1] neg_hi:[0,1]
	v_pk_add_f32 v[32:33], v[16:17], v[10:11]
	v_pk_add_f32 v[18:19], v[50:51], v[18:19]
	v_pk_add_f32 v[10:11], v[10:11], v[16:17] neg_lo:[0,1] neg_hi:[0,1]
	v_pk_add_f32 v[20:21], v[34:35], v[22:23] neg_lo:[0,1] neg_hi:[0,1]
	v_pk_add_f32 v[22:23], v[22:23], v[34:35]
	s_waitcnt lgkmcnt(0)
	; wave barrier
	s_waitcnt lgkmcnt(0)
	ds_write2_b32 v56, v71, v29 offset1:12
	ds_write2_b32 v56, v72, v73 offset0:24 offset1:36
	ds_write2_b32 v56, v31, v57 offset0:48 offset1:60
	ds_write_b32 v56, v74 offset:288
	ds_write2_b32 v58, v61, v65 offset1:12
	ds_write2_b32 v58, v64, v33 offset0:24 offset1:36
	ds_write2_b32 v58, v11, v18 offset0:48 offset1:60
	ds_write_b32 v58, v19 offset:288
	;; [unrolled: 4-line block ×3, first 2 shown]
	s_waitcnt lgkmcnt(0)
	; wave barrier
	s_waitcnt lgkmcnt(0)
	ds_read2_b32 v[34:35], v25 offset1:84
	ds_read2_b32 v[46:47], v25 offset0:168 offset1:252
	ds_read2_b32 v[48:49], v15 offset0:80 offset1:164
	v_add_u32_e32 v15, 0x600, v25
	ds_read2_b32 v[50:51], v15 offset0:120 offset1:204
	v_add_u32_e32 v15, 0x800, v25
	ds_read2_b32 v[52:53], v15 offset0:160 offset1:244
	ds_read_b32 v54, v25 offset:3360
	s_and_saveexec_b64 s[6:7], s[2:3]
	s_xor_b64 s[2:3], exec, s[6:7]
	s_cbranch_execnz .LBB0_33
; %bb.30:
	s_andn2_saveexec_b64 s[2:3], s[2:3]
	s_cbranch_execnz .LBB0_34
.LBB0_31:
	s_or_b64 exec, exec, s[2:3]
	s_and_saveexec_b64 s[2:3], s[0:1]
	s_cbranch_execnz .LBB0_35
.LBB0_32:
	s_endpgm
.LBB0_33:
                                        ; implicit-def: $vgpr25
	s_andn2_saveexec_b64 s[2:3], s[2:3]
	s_cbranch_execz .LBB0_31
.LBB0_34:
	v_add_u32_e32 v10, 0x200, v25
	ds_read2_b32 v[16:17], v10 offset0:84 offset1:168
	v_add_u32_e32 v10, 0x400, v25
	ds_read2_b32 v[14:15], v25 offset0:44 offset1:128
	ds_read2_b32 v[32:33], v10 offset0:124 offset1:208
	v_add_u32_e32 v11, 0xa00, v25
	v_add_u32_e32 v10, 0x800, v25
	ds_read2_b32 v[56:57], v11 offset0:76 offset1:160
	ds_read2_b32 v[20:21], v10 offset0:36 offset1:120
	ds_read_b32 v30, v25 offset:3536
	s_waitcnt lgkmcnt(4)
	v_mov_b32_e32 v18, v15
	v_mov_b32_e32 v19, v16
	s_waitcnt lgkmcnt(2)
	v_mov_b32_e32 v22, v56
	s_waitcnt lgkmcnt(1)
	v_mov_b32_e32 v23, v20
	v_mov_b32_e32 v10, v32
	;; [unrolled: 1-line block ×6, first 2 shown]
	s_or_b64 exec, exec, s[2:3]
	s_and_saveexec_b64 s[2:3], s[0:1]
	s_cbranch_execz .LBB0_32
.LBB0_35:
	v_mul_u32_u24_e32 v16, 10, v24
	v_lshlrev_b32_e32 v16, 3, v16
	global_load_dwordx4 v[56:59], v16, s[4:5] offset:656
	global_load_dwordx4 v[60:63], v16, s[4:5] offset:720
	global_load_dwordx4 v[64:67], v16, s[4:5] offset:672
	global_load_dwordx4 v[72:75], v16, s[4:5] offset:704
	global_load_dwordx4 v[76:79], v16, s[4:5] offset:688
	v_mov_b32_e32 v25, 0
	s_waitcnt lgkmcnt(1)
	v_mov_b32_e32 v82, v53
	v_mov_b32_e32 v88, v47
	;; [unrolled: 1-line block ×8, first 2 shown]
	v_lshl_add_u64 v[16:17], v[24:25], 3, v[26:27]
	v_mov_b32_e32 v90, v37
	v_mov_b32_e32 v92, v37
	;; [unrolled: 1-line block ×4, first 2 shown]
	s_mov_b32 s6, 0x3f575c64
	s_mov_b32 s7, 0xbf0a6770
	;; [unrolled: 1-line block ×36, first 2 shown]
	s_movk_i32 s0, 0x1000
	s_waitcnt vmcnt(4)
	v_mul_f32_e32 v51, v35, v56
	v_mul_f32_e32 v29, v35, v57
	s_waitcnt vmcnt(3) lgkmcnt(0)
	v_pk_mul_f32 v[26:27], v[54:55], v[62:63] op_sel_hi:[0,1]
	v_pk_mul_f32 v[46:47], v[46:47], v[58:59] op_sel_hi:[0,1]
	;; [unrolled: 1-line block ×3, first 2 shown]
	s_waitcnt vmcnt(2)
	v_pk_mul_f32 v[82:83], v[88:89], v[64:65] op_sel_hi:[0,1]
	s_waitcnt vmcnt(1)
	v_pk_mul_f32 v[52:53], v[52:53], v[74:75] op_sel_hi:[0,1]
	v_pk_mul_f32 v[88:89], v[94:95], v[72:73] op_sel_hi:[0,1]
	s_waitcnt vmcnt(0)
	v_pk_mul_f32 v[94:95], v[100:101], v[76:77] op_sel_hi:[0,1]
	v_pk_mul_f32 v[100:101], v[50:51], v[78:79] op_sel_hi:[0,1]
	v_fmac_f32_e32 v51, v13, v57
	v_fma_f32 v50, v13, v56, -v29
	v_pk_fma_f32 v[56:57], v[44:45], v[62:63], v[26:27] op_sel:[0,0,1] op_sel_hi:[0,1,0] neg_lo:[0,0,1] neg_hi:[0,0,1]
	v_pk_fma_f32 v[44:45], v[44:45], v[62:63], v[26:27] op_sel:[0,0,1] op_sel_hi:[0,1,0]
	v_pk_fma_f32 v[62:63], v[40:41], v[58:59], v[46:47] op_sel:[0,0,1] op_sel_hi:[1,1,0] neg_lo:[0,0,1] neg_hi:[0,0,1]
	v_pk_fma_f32 v[40:41], v[40:41], v[58:59], v[46:47] op_sel:[0,0,1] op_sel_hi:[0,1,0]
	;; [unrolled: 2-line block ×5, first 2 shown]
	v_mov_b32_e32 v13, v34
	v_pk_mul_f32 v[48:49], v[48:49], v[66:67] op_sel_hi:[0,1]
	v_mov_b32_e32 v63, v41
	v_mov_b32_e32 v65, v43
	v_pk_add_f32 v[42:43], v[12:13], v[50:51]
	v_pk_fma_f32 v[52:53], v[38:39], v[66:67], v[48:49] op_sel:[0,0,1] op_sel_hi:[1,1,0] neg_lo:[0,0,1] neg_hi:[0,0,1]
	v_pk_fma_f32 v[38:39], v[38:39], v[66:67], v[48:49] op_sel:[0,0,1] op_sel_hi:[0,1,0]
	v_pk_fma_f32 v[48:49], v[90:91], v[72:73], v[88:89] op_sel:[0,0,1] op_sel_hi:[1,1,0] neg_lo:[0,0,1] neg_hi:[0,0,1]
	v_pk_fma_f32 v[66:67], v[92:93], v[72:73], v[88:89] op_sel:[0,0,1] op_sel_hi:[0,1,0]
	v_mov_b32_e32 v57, v45
	v_add_f32_e32 v27, v45, v51
	v_mov_b32_e32 v59, v61
	v_sub_f32_e32 v26, v51, v45
	v_pk_add_f32 v[44:45], v[42:43], v[62:63]
	v_pk_fma_f32 v[68:69], v[96:97], v[76:77], v[94:95] op_sel:[0,0,1] op_sel_hi:[1,1,0] neg_lo:[0,0,1] neg_hi:[0,0,1]
	v_pk_fma_f32 v[72:73], v[98:99], v[76:77], v[94:95] op_sel:[0,0,1] op_sel_hi:[0,1,0]
	v_pk_fma_f32 v[74:75], v[36:37], v[78:79], v[100:101] op_sel:[0,0,1] op_sel_hi:[1,1,0] neg_lo:[0,0,1] neg_hi:[0,0,1]
	v_pk_fma_f32 v[36:37], v[36:37], v[78:79], v[100:101] op_sel:[0,0,1] op_sel_hi:[0,1,0]
	v_mov_b32_e32 v53, v39
	v_mov_b32_e32 v49, v67
	v_pk_add_f32 v[44:45], v[44:45], v[58:59]
	v_mov_b32_e32 v69, v73
	v_mov_b32_e32 v75, v37
	v_pk_add_f32 v[36:37], v[48:49], v[52:53]
	v_pk_add_f32 v[60:61], v[52:53], v[48:49] neg_lo:[0,1] neg_hi:[0,1]
	v_pk_add_f32 v[52:53], v[44:45], v[52:53]
	v_sub_f32_e32 v77, v50, v56
	v_pk_add_f32 v[52:53], v[52:53], v[68:69]
	v_mov_b32_e32 v47, v55
	v_add_f32_e32 v76, v56, v50
	v_pk_add_f32 v[52:53], v[74:75], v[52:53]
	v_pk_add_f32 v[40:41], v[46:47], v[62:63]
	v_pk_add_f32 v[50:51], v[62:63], v[46:47] neg_lo:[0,1] neg_hi:[0,1]
	v_pk_add_f32 v[38:39], v[64:65], v[58:59]
	v_pk_add_f32 v[54:55], v[58:59], v[64:65] neg_lo:[0,1] neg_hi:[0,1]
	v_pk_mul_f32 v[42:43], v[76:77], s[6:7]
	v_pk_add_f32 v[48:49], v[48:49], v[52:53]
	v_mov_b32_e32 v62, v40
	v_mov_b32_e32 v63, v50
	v_pk_add_f32 v[48:49], v[64:65], v[48:49]
	v_mov_b32_e32 v64, v38
	v_mov_b32_e32 v65, v54
	;; [unrolled: 1-line block ×3, first 2 shown]
	v_pk_fma_f32 v[54:55], v[26:27], s[2:3], v[42:43] neg_lo:[1,0,0] neg_hi:[1,0,0]
	v_pk_fma_f32 v[52:53], v[26:27], s[2:3], v[42:43]
	v_pk_mul_f32 v[44:45], v[62:63], s[24:25]
	v_pk_add_f32 v[46:47], v[46:47], v[48:49]
	v_mov_b32_e32 v40, v51
	v_mov_b32_e32 v55, v53
	v_pk_add_f32 v[46:47], v[56:57], v[46:47]
	v_pk_add_f32 v[56:57], v[12:13], v[54:55]
	v_pk_fma_f32 v[58:59], v[40:41], s[36:37], v[44:45] neg_lo:[1,0,0] neg_hi:[1,0,0]
	v_pk_fma_f32 v[54:55], v[40:41], s[36:37], v[44:45]
	global_store_dwordx2 v[16:17], v[46:47], off
	v_pk_mul_f32 v[46:47], v[64:65], s[10:11]
	v_mov_b32_e32 v59, v55
	v_pk_add_f32 v[34:35], v[74:75], v[68:69]
	v_pk_add_f32 v[66:67], v[68:69], v[74:75] neg_lo:[0,1] neg_hi:[0,1]
	v_mov_b32_e32 v68, v36
	v_mov_b32_e32 v69, v60
	;; [unrolled: 1-line block ×3, first 2 shown]
	v_pk_add_f32 v[58:59], v[56:57], v[58:59]
	v_pk_fma_f32 v[60:61], v[38:39], s[8:9], v[46:47] neg_lo:[1,0,0] neg_hi:[1,0,0]
	v_pk_fma_f32 v[56:57], v[38:39], s[8:9], v[46:47]
	v_pk_mul_f32 v[48:49], v[68:69], s[14:15]
	v_mov_b32_e32 v61, v57
	v_mov_b32_e32 v72, v34
	v_mov_b32_e32 v73, v66
	v_mov_b32_e32 v34, v67
	v_pk_add_f32 v[60:61], v[58:59], v[60:61]
	v_pk_fma_f32 v[66:67], v[36:37], s[12:13], v[48:49] neg_lo:[1,0,0] neg_hi:[1,0,0]
	v_pk_fma_f32 v[58:59], v[36:37], s[12:13], v[48:49]
	v_pk_mul_f32 v[50:51], v[72:73], s[18:19]
	v_mov_b32_e32 v67, v59
	v_pk_add_f32 v[66:67], v[60:61], v[66:67]
	v_pk_fma_f32 v[74:75], v[34:35], s[16:17], v[50:51] neg_lo:[1,0,0] neg_hi:[1,0,0]
	v_pk_fma_f32 v[60:61], v[34:35], s[16:17], v[50:51]
	v_pk_mul_f32 v[78:79], v[64:65], s[40:41]
	v_mov_b32_e32 v75, v61
	v_pk_add_f32 v[66:67], v[66:67], v[74:75]
	global_store_dwordx2 v[16:17], v[66:67], off offset:672
	v_pk_mul_f32 v[66:67], v[76:77], s[24:25]
	v_pk_mul_f32 v[74:75], v[62:63], s[14:15]
	v_pk_fma_f32 v[84:85], v[26:27], s[36:37], v[66:67] neg_lo:[1,0,0] neg_hi:[1,0,0]
	v_pk_fma_f32 v[86:87], v[26:27], s[36:37], v[66:67]
	v_pk_fma_f32 v[88:89], v[40:41], s[12:13], v[74:75] neg_lo:[1,0,0] neg_hi:[1,0,0]
	v_mov_b32_e32 v85, v87
	v_pk_fma_f32 v[90:91], v[40:41], s[12:13], v[74:75]
	v_pk_add_f32 v[84:85], v[12:13], v[84:85]
	v_mov_b32_e32 v89, v91
	v_pk_add_f32 v[84:85], v[84:85], v[88:89]
	v_pk_fma_f32 v[88:89], v[38:39], s[38:39], v[78:79] neg_lo:[1,0,0] neg_hi:[1,0,0]
	v_pk_fma_f32 v[92:93], v[38:39], s[38:39], v[78:79]
	v_pk_mul_f32 v[80:81], v[68:69], s[34:35]
	v_mov_b32_e32 v89, v93
	v_pk_add_f32 v[84:85], v[84:85], v[88:89]
	v_pk_fma_f32 v[88:89], v[36:37], s[28:29], v[80:81] neg_lo:[1,0,0] neg_hi:[1,0,0]
	v_pk_fma_f32 v[94:95], v[36:37], s[28:29], v[80:81]
	v_pk_mul_f32 v[82:83], v[72:73], s[22:23]
	;; [unrolled: 5-line block ×3, first 2 shown]
	v_mov_b32_e32 v89, v97
	v_pk_add_f32 v[84:85], v[84:85], v[88:89]
	global_store_dwordx2 v[16:17], v[84:85], off offset:1344
	v_pk_mul_f32 v[84:85], v[76:77], s[10:11]
	v_pk_mul_f32 v[88:89], v[62:63], s[40:41]
	v_pk_fma_f32 v[98:99], v[26:27], s[8:9], v[84:85] neg_lo:[1,0,0] neg_hi:[1,0,0]
	v_pk_fma_f32 v[100:101], v[26:27], s[8:9], v[84:85]
	v_pk_fma_f32 v[102:103], v[40:41], s[38:39], v[88:89] neg_lo:[1,0,0] neg_hi:[1,0,0]
	v_mov_b32_e32 v99, v101
	v_pk_fma_f32 v[104:105], v[40:41], s[38:39], v[88:89]
	v_pk_add_f32 v[98:99], v[12:13], v[98:99]
	v_mov_b32_e32 v103, v105
	v_pk_add_f32 v[98:99], v[98:99], v[102:103]
	v_pk_mul_f32 v[102:103], v[64:65], s[30:31]
	v_pk_fma_f32 v[122:123], v[40:41], s[28:29], v[120:121] neg_lo:[1,0,0] neg_hi:[1,0,0]
	v_pk_fma_f32 v[106:107], v[38:39], s[26:27], v[102:103] neg_lo:[1,0,0] neg_hi:[1,0,0]
	v_pk_fma_f32 v[108:109], v[38:39], s[26:27], v[102:103]
	v_pk_fma_f32 v[124:125], v[40:41], s[28:29], v[120:121]
	v_mov_b32_e32 v107, v109
	v_pk_add_f32 v[98:99], v[98:99], v[106:107]
	v_pk_mul_f32 v[106:107], v[68:69], s[6:7]
	v_mov_b32_e32 v123, v125
	v_pk_fma_f32 v[110:111], v[36:37], s[2:3], v[106:107] neg_lo:[1,0,0] neg_hi:[1,0,0]
	v_pk_fma_f32 v[112:113], v[36:37], s[2:3], v[106:107]
	v_pk_mul_f32 v[62:63], v[62:63], s[22:23]
	v_mov_b32_e32 v111, v113
	v_pk_add_f32 v[98:99], v[98:99], v[110:111]
	v_pk_mul_f32 v[110:111], v[72:73], s[14:15]
	v_pk_fma_f32 v[138:139], v[40:41], s[20:21], v[62:63] neg_lo:[1,0,0] neg_hi:[1,0,0]
	v_pk_fma_f32 v[114:115], v[34:35], s[12:13], v[110:111] neg_lo:[1,0,0] neg_hi:[1,0,0]
	v_pk_fma_f32 v[116:117], v[34:35], s[12:13], v[110:111]
	v_pk_fma_f32 v[140:141], v[40:41], s[20:21], v[62:63]
	v_mov_b32_e32 v115, v117
	v_pk_add_f32 v[98:99], v[98:99], v[114:115]
	global_store_dwordx2 v[16:17], v[98:99], off offset:2016
	v_pk_mul_f32 v[98:99], v[76:77], s[14:15]
	v_pk_mul_f32 v[76:77], v[76:77], s[18:19]
	v_pk_fma_f32 v[114:115], v[26:27], s[12:13], v[98:99] neg_lo:[1,0,0] neg_hi:[1,0,0]
	v_pk_fma_f32 v[118:119], v[26:27], s[12:13], v[98:99]
	v_mov_b32_e32 v139, v141
	v_mov_b32_e32 v115, v119
	v_pk_add_f32 v[114:115], v[12:13], v[114:115]
	v_pk_fma_f32 v[62:63], v[40:41], s[20:21], v[62:63] neg_lo:[0,0,1] neg_hi:[0,0,1]
	v_pk_add_f32 v[114:115], v[114:115], v[122:123]
	v_pk_mul_f32 v[122:123], v[64:65], s[6:7]
	v_pk_mul_f32 v[64:65], v[64:65], s[14:15]
	v_pk_fma_f32 v[126:127], v[38:39], s[2:3], v[122:123] neg_lo:[1,0,0] neg_hi:[1,0,0]
	v_pk_fma_f32 v[128:129], v[38:39], s[2:3], v[122:123]
	v_pk_fma_f32 v[142:143], v[38:39], s[12:13], v[64:65]
	v_mov_b32_e32 v127, v129
	v_pk_add_f32 v[114:115], v[114:115], v[126:127]
	v_pk_mul_f32 v[126:127], v[68:69], s[18:19]
	v_pk_mul_f32 v[68:69], v[68:69], s[30:31]
	v_pk_fma_f32 v[130:131], v[36:37], s[16:17], v[126:127] neg_lo:[1,0,0] neg_hi:[1,0,0]
	v_pk_fma_f32 v[132:133], v[36:37], s[16:17], v[126:127]
	v_pk_fma_f32 v[144:145], v[36:37], s[26:27], v[68:69]
	v_mov_b32_e32 v131, v133
	v_pk_add_f32 v[114:115], v[114:115], v[130:131]
	v_pk_mul_f32 v[130:131], v[72:73], s[30:31]
	v_mov_b32_e32 v141, v63
	v_pk_fma_f32 v[134:135], v[34:35], s[26:27], v[130:131] neg_lo:[1,0,0] neg_hi:[1,0,0]
	v_pk_fma_f32 v[136:137], v[34:35], s[26:27], v[130:131]
	v_pk_mul_f32 v[72:73], v[72:73], s[10:11]
	v_mov_b32_e32 v135, v137
	v_pk_add_f32 v[114:115], v[114:115], v[134:135]
	global_store_dwordx2 v[16:17], v[114:115], off offset:2688
	v_pk_fma_f32 v[114:115], v[26:27], s[16:17], v[76:77] neg_lo:[1,0,0] neg_hi:[1,0,0]
	v_pk_fma_f32 v[134:135], v[26:27], s[16:17], v[76:77]
	v_pk_fma_f32 v[76:77], v[26:27], s[16:17], v[76:77] neg_lo:[0,0,1] neg_hi:[0,0,1]
	v_mov_b32_e32 v115, v135
	v_pk_add_f32 v[114:115], v[12:13], v[114:115]
	v_mov_b32_e32 v135, v77
	v_pk_add_f32 v[114:115], v[114:115], v[138:139]
	v_pk_fma_f32 v[138:139], v[38:39], s[12:13], v[64:65] neg_lo:[1,0,0] neg_hi:[1,0,0]
	v_pk_add_f32 v[62:63], v[12:13], v[134:135]
	v_mov_b32_e32 v139, v143
	v_pk_add_f32 v[114:115], v[114:115], v[138:139]
	v_pk_fma_f32 v[138:139], v[36:37], s[26:27], v[68:69] neg_lo:[1,0,0] neg_hi:[1,0,0]
	v_pk_fma_f32 v[64:65], v[38:39], s[12:13], v[64:65] neg_lo:[0,0,1] neg_hi:[0,0,1]
	v_mov_b32_e32 v139, v145
	v_pk_add_f32 v[62:63], v[62:63], v[140:141]
	v_mov_b32_e32 v143, v65
	v_pk_fma_f32 v[64:65], v[36:37], s[26:27], v[68:69] neg_lo:[0,0,1] neg_hi:[0,0,1]
	v_pk_add_f32 v[114:115], v[114:115], v[138:139]
	v_pk_fma_f32 v[138:139], v[34:35], s[8:9], v[72:73] neg_lo:[1,0,0] neg_hi:[1,0,0]
	v_pk_fma_f32 v[146:147], v[34:35], s[8:9], v[72:73]
	v_pk_add_f32 v[62:63], v[62:63], v[142:143]
	v_mov_b32_e32 v145, v65
	v_pk_fma_f32 v[64:65], v[34:35], s[8:9], v[72:73] neg_lo:[0,0,1] neg_hi:[0,0,1]
	v_mov_b32_e32 v139, v147
	v_pk_add_f32 v[62:63], v[62:63], v[144:145]
	v_mov_b32_e32 v147, v65
	v_pk_add_f32 v[62:63], v[62:63], v[146:147]
	global_store_dwordx2 v[16:17], v[62:63], off offset:4032
	v_pk_fma_f32 v[62:63], v[26:27], s[12:13], v[98:99] neg_lo:[0,0,1] neg_hi:[0,0,1]
	v_pk_fma_f32 v[64:65], v[38:39], s[2:3], v[122:123] neg_lo:[0,0,1] neg_hi:[0,0,1]
	v_mov_b32_e32 v119, v63
	v_pk_fma_f32 v[62:63], v[40:41], s[28:29], v[120:121] neg_lo:[0,0,1] neg_hi:[0,0,1]
	v_mov_b32_e32 v129, v65
	v_mov_b32_e32 v125, v63
	v_pk_add_f32 v[62:63], v[12:13], v[118:119]
	v_pk_fma_f32 v[64:65], v[36:37], s[16:17], v[126:127] neg_lo:[0,0,1] neg_hi:[0,0,1]
	v_pk_add_f32 v[62:63], v[62:63], v[124:125]
	v_mov_b32_e32 v133, v65
	v_pk_add_f32 v[62:63], v[62:63], v[128:129]
	v_pk_fma_f32 v[64:65], v[34:35], s[26:27], v[130:131] neg_lo:[0,0,1] neg_hi:[0,0,1]
	v_pk_add_f32 v[62:63], v[62:63], v[132:133]
	v_mov_b32_e32 v137, v65
	v_add_co_u32_e64 v64, s[0:1], s0, v16
	v_pk_add_f32 v[62:63], v[62:63], v[136:137]
	s_nop 0
	v_addc_co_u32_e64 v65, s[0:1], 0, v17, s[0:1]
	global_store_dwordx2 v[64:65], v[62:63], off offset:608
	v_pk_fma_f32 v[62:63], v[26:27], s[8:9], v[84:85] neg_lo:[0,0,1] neg_hi:[0,0,1]
	v_pk_fma_f32 v[68:69], v[40:41], s[38:39], v[88:89] neg_lo:[0,0,1] neg_hi:[0,0,1]
	v_mov_b32_e32 v101, v63
	v_pk_add_f32 v[62:63], v[12:13], v[100:101]
	v_mov_b32_e32 v105, v69
	v_pk_fma_f32 v[68:69], v[38:39], s[26:27], v[102:103] neg_lo:[0,0,1] neg_hi:[0,0,1]
	v_pk_add_f32 v[62:63], v[62:63], v[104:105]
	v_mov_b32_e32 v109, v69
	v_pk_fma_f32 v[68:69], v[36:37], s[2:3], v[106:107] neg_lo:[0,0,1] neg_hi:[0,0,1]
	;; [unrolled: 3-line block ×3, first 2 shown]
	v_pk_add_f32 v[62:63], v[62:63], v[112:113]
	v_mov_b32_e32 v117, v69
	v_pk_add_f32 v[62:63], v[62:63], v[116:117]
	global_store_dwordx2 v[64:65], v[62:63], off offset:1280
	v_pk_fma_f32 v[62:63], v[26:27], s[36:37], v[66:67] neg_lo:[0,0,1] neg_hi:[0,0,1]
	v_pk_fma_f32 v[26:27], v[26:27], s[2:3], v[42:43] neg_lo:[0,0,1] neg_hi:[0,0,1]
	v_mov_b32_e32 v87, v63
	v_pk_fma_f32 v[66:67], v[40:41], s[12:13], v[74:75] neg_lo:[0,0,1] neg_hi:[0,0,1]
	v_mov_b32_e32 v53, v27
	v_pk_fma_f32 v[26:27], v[40:41], s[36:37], v[44:45] neg_lo:[0,0,1] neg_hi:[0,0,1]
	v_pk_add_f32 v[62:63], v[12:13], v[86:87]
	v_mov_b32_e32 v91, v67
	v_pk_fma_f32 v[66:67], v[38:39], s[38:39], v[78:79] neg_lo:[0,0,1] neg_hi:[0,0,1]
	v_pk_add_f32 v[12:13], v[12:13], v[52:53]
	;; [unrolled: 3-line block ×7, first 2 shown]
	v_mov_b32_e32 v97, v67
	v_pk_add_f32 v[12:13], v[12:13], v[58:59]
	v_mov_b32_e32 v61, v27
	v_pk_add_f32 v[114:115], v[114:115], v[138:139]
	v_pk_add_f32 v[62:63], v[62:63], v[96:97]
	;; [unrolled: 1-line block ×3, first 2 shown]
	global_store_dwordx2 v[16:17], v[114:115], off offset:3360
	global_store_dwordx2 v[64:65], v[62:63], off offset:1952
	;; [unrolled: 1-line block ×3, first 2 shown]
	s_and_b64 exec, exec, vcc
	s_cbranch_execz .LBB0_32
; %bb.36:
	v_subrev_u32_e32 v12, 40, v24
	v_cndmask_b32_e32 v12, v12, v70, vcc
	v_mul_i32_i24_e32 v24, 10, v12
	v_lshl_add_u64 v[12:13], v[24:25], 3, s[4:5]
	global_load_dwordx4 v[24:27], v[12:13], off offset:656
	global_load_dwordx4 v[34:37], v[12:13], off offset:672
	;; [unrolled: 1-line block ×5, first 2 shown]
	s_mov_b32 s0, s7
	s_mov_b32 s4, s25
	s_mov_b32 s42, s11
	s_mov_b32 s44, s15
	s_waitcnt vmcnt(4)
	v_mov_b32_e32 v12, v27
	v_mov_b32_e32 v13, v26
	s_waitcnt vmcnt(3)
	v_pk_mul_f32 v[14:15], v[14:15], v[34:35] op_sel_hi:[0,1]
	v_pk_mul_f32 v[50:51], v[10:11], v[36:37] op_sel_hi:[0,1]
	s_waitcnt vmcnt(2)
	v_pk_mul_f32 v[52:53], v[20:21], v[38:39] op_sel_hi:[0,1]
	v_pk_mul_f32 v[54:55], v[22:23], v[40:41] op_sel:[1,0]
	s_waitcnt vmcnt(1)
	v_pk_mul_f32 v[20:21], v[20:21], v[42:43] op_sel:[1,0]
	v_pk_mul_f32 v[22:23], v[22:23], v[44:45] op_sel_hi:[0,1]
	s_waitcnt vmcnt(0)
	v_pk_mul_f32 v[30:31], v[30:31], v[48:49] op_sel_hi:[0,1]
	v_pk_mul_f32 v[56:57], v[18:19], v[24:25] op_sel_hi:[0,1]
	;; [unrolled: 1-line block ×3, first 2 shown]
	v_mov_b32_e32 v10, v3
	v_pk_mul_f32 v[12:13], v[18:19], v[12:13] op_sel:[1,0]
	v_pk_fma_f32 v[18:19], v[2:3], v[34:35], v[14:15] op_sel:[0,0,1] op_sel_hi:[1,1,0] neg_lo:[0,0,1] neg_hi:[0,0,1]
	v_pk_fma_f32 v[2:3], v[2:3], v[34:35], v[14:15] op_sel:[0,0,1] op_sel_hi:[0,1,0]
	v_pk_fma_f32 v[14:15], v[8:9], v[36:37], v[50:51] op_sel:[0,0,1] op_sel_hi:[1,1,0] neg_lo:[0,0,1] neg_hi:[0,0,1]
	v_pk_fma_f32 v[34:35], v[8:9], v[36:37], v[50:51] op_sel:[0,0,1] op_sel_hi:[0,1,0]
	;; [unrolled: 2-line block ×9, first 2 shown]
	v_pk_fma_f32 v[24:25], v[4:5], v[26:27], v[12:13] neg_lo:[0,0,1] neg_hi:[0,0,1]
	v_pk_fma_f32 v[4:5], v[4:5], v[26:27], v[12:13] op_sel_hi:[0,1,1]
	v_mov_b32_e32 v31, v1
	v_mov_b32_e32 v25, v5
	v_pk_add_f32 v[0:1], v[10:11], v[30:31]
	v_mov_b32_e32 v19, v3
	v_pk_add_f32 v[0:1], v[0:1], v[24:25]
	;; [unrolled: 2-line block ×3, first 2 shown]
	v_mov_b32_e32 v37, v9
	v_mov_b32_e32 v45, v29
	v_pk_add_f32 v[0:1], v[0:1], v[14:15]
	v_mov_b32_e32 v39, v41
	v_mov_b32_e32 v23, v33
	v_pk_add_f32 v[4:5], v[30:31], v[44:45] neg_lo:[0,1] neg_hi:[0,1]
	v_pk_add_f32 v[0:1], v[0:1], v[36:37]
	v_mov_b32_e32 v51, v21
	v_mov_b32_e32 v43, v7
	v_pk_add_f32 v[2:3], v[30:31], v[44:45]
	v_pk_mul_f32 v[26:27], v[4:5], s[0:1] op_sel_hi:[1,0]
	v_pk_add_f32 v[28:29], v[24:25], v[22:23]
	v_pk_add_f32 v[24:25], v[24:25], v[22:23] neg_lo:[0,1] neg_hi:[0,1]
	v_pk_add_f32 v[0:1], v[0:1], v[38:39]
	v_pk_add_f32 v[6:7], v[18:19], v[42:43]
	v_pk_add_f32 v[8:9], v[18:19], v[42:43] neg_lo:[0,1] neg_hi:[0,1]
	v_pk_fma_f32 v[18:19], v[2:3], s[6:7], v[26:27] op_sel:[0,0,1] op_sel_hi:[1,0,0]
	v_pk_fma_f32 v[26:27], v[2:3], s[6:7], v[26:27] op_sel:[0,0,1] op_sel_hi:[1,0,0] neg_lo:[0,0,1] neg_hi:[0,0,1]
	v_pk_mul_f32 v[34:35], v[24:25], s[4:5] op_sel_hi:[1,0]
	v_pk_add_f32 v[0:1], v[0:1], v[50:51]
	v_pk_add_f32 v[12:13], v[14:15], v[50:51]
	v_pk_add_f32 v[20:21], v[14:15], v[50:51] neg_lo:[0,1] neg_hi:[0,1]
	v_pk_mul_f32 v[30:31], v[8:9], s[42:43] op_sel_hi:[1,0]
	v_mov_b32_e32 v15, v27
	v_pk_fma_f32 v[48:49], v[28:29], s[24:25], v[34:35] op_sel:[0,0,1] op_sel_hi:[1,0,0]
	v_pk_fma_f32 v[34:35], v[28:29], s[24:25], v[34:35] op_sel:[0,0,1] op_sel_hi:[1,0,0] neg_lo:[0,0,1] neg_hi:[0,0,1]
	v_pk_add_f32 v[0:1], v[0:1], v[42:43]
	v_mov_b32_e32 v27, v19
	v_pk_mul_f32 v[32:33], v[20:21], s[44:45] op_sel_hi:[1,0]
	v_pk_fma_f32 v[40:41], v[6:7], s[10:11], v[30:31] op_sel:[0,0,1] op_sel_hi:[1,0,0]
	v_pk_fma_f32 v[30:31], v[6:7], s[10:11], v[30:31] op_sel:[0,0,1] op_sel_hi:[1,0,0] neg_lo:[0,0,1] neg_hi:[0,0,1]
	v_mov_b32_e32 v14, v18
	v_mov_b32_e32 v57, v35
	v_pk_add_f32 v[0:1], v[0:1], v[22:23]
	v_pk_add_f32 v[22:23], v[36:37], v[38:39]
	v_pk_add_f32 v[36:37], v[36:37], v[38:39] neg_lo:[0,1] neg_hi:[0,1]
	s_mov_b32 s0, s19
	v_pk_add_f32 v[18:19], v[10:11], v[26:27]
	v_mov_b32_e32 v35, v49
	v_pk_fma_f32 v[46:47], v[12:13], s[14:15], v[32:33] op_sel:[0,0,1] op_sel_hi:[1,0,0]
	v_pk_fma_f32 v[32:33], v[12:13], s[14:15], v[32:33] op_sel:[0,0,1] op_sel_hi:[1,0,0] neg_lo:[0,0,1] neg_hi:[0,0,1]
	v_mov_b32_e32 v53, v31
	v_pk_add_f32 v[14:15], v[10:11], v[14:15]
	v_mov_b32_e32 v56, v48
	v_pk_mul_f32 v[38:39], v[36:37], s[0:1] op_sel_hi:[1,0]
	v_pk_add_f32 v[18:19], v[34:35], v[18:19]
	v_mov_b32_e32 v31, v41
	v_mov_b32_e32 v52, v40
	;; [unrolled: 1-line block ×3, first 2 shown]
	v_pk_add_f32 v[14:15], v[56:57], v[14:15]
	v_pk_add_f32 v[18:19], v[30:31], v[18:19]
	v_mov_b32_e32 v33, v47
	v_pk_fma_f32 v[26:27], v[22:23], s[18:19], v[38:39] op_sel:[0,0,1] op_sel_hi:[1,0,0] neg_lo:[0,0,1] neg_hi:[0,0,1]
	v_pk_fma_f32 v[30:31], v[22:23], s[18:19], v[38:39] op_sel:[0,0,1] op_sel_hi:[1,0,0]
	v_mov_b32_e32 v54, v46
	v_pk_add_f32 v[14:15], v[52:53], v[14:15]
	v_pk_add_f32 v[18:19], v[32:33], v[18:19]
	v_mov_b32_e32 v33, v31
	v_mov_b32_e32 v31, v27
	;; [unrolled: 1-line block ×4, first 2 shown]
	v_pk_add_f32 v[14:15], v[54:55], v[14:15]
	v_mov_b32_e32 v32, v26
	v_mov_b32_e32 v26, v5
	v_pk_mul_f32 v[4:5], v[2:3], s[24:25]
	v_mov_b32_e32 v35, v29
	v_mov_b32_e32 v29, v24
	v_pk_add_f32 v[18:19], v[32:33], v[18:19]
	v_pk_add_f32 v[14:15], v[30:31], v[14:15]
	v_pk_fma_f32 v[30:31], v[26:27], s[36:37], v[4:5] neg_lo:[1,0,0] neg_hi:[1,0,0]
	v_pk_fma_f32 v[32:33], v[26:27], s[36:37], v[4:5]
	v_mov_b32_e32 v34, v25
	v_pk_mul_f32 v[24:25], v[28:29], s[14:15]
	v_mov_b32_e32 v31, v33
	v_pk_fma_f32 v[38:39], v[34:35], s[12:13], v[24:25] neg_lo:[1,0,0] neg_hi:[1,0,0]
	v_pk_fma_f32 v[40:41], v[34:35], s[12:13], v[24:25]
	v_pk_add_f32 v[30:31], v[10:11], v[30:31]
	v_mov_b32_e32 v39, v41
	v_pk_add_f32 v[30:31], v[38:39], v[30:31]
	v_mov_b32_e32 v39, v7
	v_mov_b32_e32 v7, v8
	;; [unrolled: 1-line block ×3, first 2 shown]
	v_pk_mul_f32 v[8:9], v[6:7], s[40:41]
	v_pk_add_f32 v[0:1], v[0:1], v[44:45]
	v_pk_fma_f32 v[42:43], v[38:39], s[38:39], v[8:9] neg_lo:[1,0,0] neg_hi:[1,0,0]
	v_pk_fma_f32 v[44:45], v[38:39], s[38:39], v[8:9]
	v_pk_fma_f32 v[8:9], v[38:39], s[38:39], v[8:9] neg_lo:[0,0,1] neg_hi:[0,0,1]
	v_mov_b32_e32 v43, v45
	v_pk_add_f32 v[30:31], v[42:43], v[30:31]
	v_mov_b32_e32 v43, v13
	v_mov_b32_e32 v13, v20
	;; [unrolled: 1-line block ×3, first 2 shown]
	v_pk_mul_f32 v[20:21], v[12:13], s[34:35]
	v_mov_b32_e32 v45, v9
	v_pk_fma_f32 v[46:47], v[42:43], s[28:29], v[20:21] neg_lo:[1,0,0] neg_hi:[1,0,0]
	v_pk_fma_f32 v[48:49], v[42:43], s[28:29], v[20:21]
	v_pk_fma_f32 v[8:9], v[42:43], s[28:29], v[20:21] neg_lo:[0,0,1] neg_hi:[0,0,1]
	v_mov_b32_e32 v47, v49
	v_pk_add_f32 v[30:31], v[46:47], v[30:31]
	v_mov_b32_e32 v47, v23
	v_mov_b32_e32 v23, v36
	;; [unrolled: 1-line block ×3, first 2 shown]
	v_pk_mul_f32 v[36:37], v[22:23], s[22:23]
	v_pk_fma_f32 v[4:5], v[26:27], s[36:37], v[4:5] neg_lo:[0,0,1] neg_hi:[0,0,1]
	v_pk_fma_f32 v[50:51], v[46:47], s[20:21], v[36:37] neg_lo:[1,0,0] neg_hi:[1,0,0]
	v_pk_fma_f32 v[52:53], v[46:47], s[20:21], v[36:37]
	v_mov_b32_e32 v49, v9
	v_pk_fma_f32 v[8:9], v[46:47], s[20:21], v[36:37] neg_lo:[0,0,1] neg_hi:[0,0,1]
	v_mov_b32_e32 v51, v53
	v_mov_b32_e32 v33, v5
	v_pk_fma_f32 v[24:25], v[34:35], s[12:13], v[24:25] neg_lo:[0,0,1] neg_hi:[0,0,1]
	v_mov_b32_e32 v53, v9
	v_pk_mul_f32 v[8:9], v[2:3], s[10:11]
	v_pk_add_f32 v[4:5], v[10:11], v[32:33]
	v_mov_b32_e32 v41, v25
	v_pk_fma_f32 v[20:21], v[26:27], s[8:9], v[8:9] neg_lo:[1,0,0] neg_hi:[1,0,0]
	v_pk_fma_f32 v[24:25], v[26:27], s[8:9], v[8:9]
	v_pk_mul_f32 v[32:33], v[28:29], s[40:41]
	v_pk_add_f32 v[4:5], v[40:41], v[4:5]
	v_mov_b32_e32 v21, v25
	v_pk_fma_f32 v[36:37], v[34:35], s[38:39], v[32:33] neg_lo:[1,0,0] neg_hi:[1,0,0]
	v_pk_fma_f32 v[40:41], v[34:35], s[38:39], v[32:33]
	v_pk_add_f32 v[20:21], v[10:11], v[20:21]
	v_mov_b32_e32 v37, v41
	v_pk_add_f32 v[4:5], v[44:45], v[4:5]
	v_pk_add_f32 v[20:21], v[36:37], v[20:21]
	v_pk_mul_f32 v[36:37], v[6:7], s[30:31]
	v_pk_add_f32 v[4:5], v[48:49], v[4:5]
	v_pk_fma_f32 v[44:45], v[38:39], s[26:27], v[36:37] neg_lo:[1,0,0] neg_hi:[1,0,0]
	v_pk_fma_f32 v[48:49], v[38:39], s[26:27], v[36:37]
	v_pk_fma_f32 v[8:9], v[26:27], s[8:9], v[8:9] neg_lo:[0,0,1] neg_hi:[0,0,1]
	v_mov_b32_e32 v45, v49
	v_pk_add_f32 v[20:21], v[44:45], v[20:21]
	v_pk_mul_f32 v[44:45], v[12:13], s[6:7]
	v_mov_b32_e32 v25, v9
	v_pk_add_f32 v[30:31], v[50:51], v[30:31]
	v_pk_add_f32 v[4:5], v[52:53], v[4:5]
	v_pk_fma_f32 v[50:51], v[42:43], s[2:3], v[44:45] neg_lo:[1,0,0] neg_hi:[1,0,0]
	v_pk_fma_f32 v[52:53], v[42:43], s[2:3], v[44:45]
	v_pk_add_f32 v[8:9], v[10:11], v[24:25]
	v_pk_fma_f32 v[24:25], v[34:35], s[38:39], v[32:33] neg_lo:[0,0,1] neg_hi:[0,0,1]
	v_mov_b32_e32 v51, v53
	v_mov_b32_e32 v41, v25
	v_pk_fma_f32 v[24:25], v[38:39], s[26:27], v[36:37] neg_lo:[0,0,1] neg_hi:[0,0,1]
	v_pk_add_f32 v[20:21], v[50:51], v[20:21]
	v_pk_mul_f32 v[50:51], v[22:23], s[14:15]
	v_mov_b32_e32 v49, v25
	v_pk_fma_f32 v[24:25], v[42:43], s[2:3], v[44:45] neg_lo:[0,0,1] neg_hi:[0,0,1]
	v_pk_fma_f32 v[54:55], v[46:47], s[12:13], v[50:51] neg_lo:[1,0,0] neg_hi:[1,0,0]
	v_pk_fma_f32 v[56:57], v[46:47], s[12:13], v[50:51]
	v_mov_b32_e32 v53, v25
	v_pk_fma_f32 v[24:25], v[46:47], s[12:13], v[50:51] neg_lo:[0,0,1] neg_hi:[0,0,1]
	v_mov_b32_e32 v55, v57
	v_mov_b32_e32 v57, v25
	v_pk_mul_f32 v[24:25], v[2:3], s[14:15]
	v_pk_add_f32 v[8:9], v[40:41], v[8:9]
	v_pk_fma_f32 v[32:33], v[26:27], s[12:13], v[24:25] neg_lo:[1,0,0] neg_hi:[1,0,0]
	v_pk_fma_f32 v[36:37], v[26:27], s[12:13], v[24:25]
	v_pk_mul_f32 v[40:41], v[28:29], s[34:35]
	v_pk_add_f32 v[8:9], v[48:49], v[8:9]
	v_mov_b32_e32 v33, v37
	v_pk_fma_f32 v[44:45], v[34:35], s[28:29], v[40:41] neg_lo:[1,0,0] neg_hi:[1,0,0]
	v_pk_fma_f32 v[48:49], v[34:35], s[28:29], v[40:41]
	v_pk_add_f32 v[32:33], v[10:11], v[32:33]
	v_mov_b32_e32 v45, v49
	v_pk_add_f32 v[32:33], v[44:45], v[32:33]
	v_pk_mul_f32 v[44:45], v[6:7], s[6:7]
	v_pk_add_f32 v[8:9], v[52:53], v[8:9]
	v_pk_fma_f32 v[50:51], v[38:39], s[2:3], v[44:45] neg_lo:[1,0,0] neg_hi:[1,0,0]
	v_pk_fma_f32 v[52:53], v[38:39], s[2:3], v[44:45]
	v_pk_fma_f32 v[24:25], v[26:27], s[12:13], v[24:25] neg_lo:[0,0,1] neg_hi:[0,0,1]
	v_mov_b32_e32 v51, v53
	v_pk_add_f32 v[32:33], v[50:51], v[32:33]
	v_pk_mul_f32 v[50:51], v[12:13], s[18:19]
	v_mov_b32_e32 v37, v25
	v_pk_add_f32 v[20:21], v[54:55], v[20:21]
	v_pk_add_f32 v[8:9], v[56:57], v[8:9]
	v_pk_fma_f32 v[54:55], v[42:43], s[16:17], v[50:51] neg_lo:[1,0,0] neg_hi:[1,0,0]
	v_pk_fma_f32 v[56:57], v[42:43], s[16:17], v[50:51]
	v_pk_add_f32 v[24:25], v[10:11], v[36:37]
	v_pk_fma_f32 v[36:37], v[34:35], s[28:29], v[40:41] neg_lo:[0,0,1] neg_hi:[0,0,1]
	v_mov_b32_e32 v55, v57
	v_mov_b32_e32 v49, v37
	v_pk_fma_f32 v[36:37], v[38:39], s[2:3], v[44:45] neg_lo:[0,0,1] neg_hi:[0,0,1]
	v_pk_add_f32 v[32:33], v[54:55], v[32:33]
	v_pk_mul_f32 v[54:55], v[22:23], s[30:31]
	v_mov_b32_e32 v53, v37
	v_pk_fma_f32 v[36:37], v[42:43], s[16:17], v[50:51] neg_lo:[0,0,1] neg_hi:[0,0,1]
	v_pk_fma_f32 v[58:59], v[46:47], s[26:27], v[54:55] neg_lo:[1,0,0] neg_hi:[1,0,0]
	v_pk_fma_f32 v[60:61], v[46:47], s[26:27], v[54:55]
	v_mov_b32_e32 v57, v37
	v_pk_fma_f32 v[36:37], v[46:47], s[26:27], v[54:55] neg_lo:[0,0,1] neg_hi:[0,0,1]
	v_pk_mul_f32 v[2:3], v[2:3], s[18:19]
	v_mov_b32_e32 v59, v61
	v_mov_b32_e32 v61, v37
	v_pk_fma_f32 v[36:37], v[26:27], s[16:17], v[2:3] neg_lo:[1,0,0] neg_hi:[1,0,0]
	v_pk_fma_f32 v[40:41], v[26:27], s[16:17], v[2:3]
	v_pk_mul_f32 v[28:29], v[28:29], s[22:23]
	v_pk_add_f32 v[24:25], v[48:49], v[24:25]
	v_mov_b32_e32 v37, v41
	v_pk_fma_f32 v[44:45], v[34:35], s[20:21], v[28:29] neg_lo:[1,0,0] neg_hi:[1,0,0]
	v_pk_fma_f32 v[48:49], v[34:35], s[20:21], v[28:29]
	v_pk_add_f32 v[36:37], v[10:11], v[36:37]
	v_mov_b32_e32 v45, v49
	v_pk_mul_f32 v[6:7], v[6:7], s[14:15]
	v_pk_add_f32 v[36:37], v[44:45], v[36:37]
	v_pk_fma_f32 v[44:45], v[38:39], s[12:13], v[6:7] neg_lo:[1,0,0] neg_hi:[1,0,0]
	v_pk_fma_f32 v[50:51], v[38:39], s[12:13], v[6:7]
	v_pk_fma_f32 v[2:3], v[26:27], s[16:17], v[2:3] neg_lo:[0,0,1] neg_hi:[0,0,1]
	v_mov_b32_e32 v45, v51
	v_pk_mul_f32 v[12:13], v[12:13], s[30:31]
	v_mov_b32_e32 v41, v3
	v_pk_add_f32 v[24:25], v[52:53], v[24:25]
	v_pk_add_f32 v[36:37], v[44:45], v[36:37]
	v_pk_fma_f32 v[44:45], v[42:43], s[26:27], v[12:13] neg_lo:[1,0,0] neg_hi:[1,0,0]
	v_pk_fma_f32 v[52:53], v[42:43], s[26:27], v[12:13]
	v_pk_add_f32 v[2:3], v[10:11], v[40:41]
	v_pk_fma_f32 v[10:11], v[34:35], s[20:21], v[28:29] neg_lo:[0,0,1] neg_hi:[0,0,1]
	v_mov_b32_e32 v45, v53
	v_pk_mul_f32 v[22:23], v[22:23], s[10:11]
	v_mov_b32_e32 v49, v11
	v_pk_fma_f32 v[6:7], v[38:39], s[12:13], v[6:7] neg_lo:[0,0,1] neg_hi:[0,0,1]
	v_pk_add_f32 v[36:37], v[44:45], v[36:37]
	v_pk_fma_f32 v[44:45], v[46:47], s[8:9], v[22:23] neg_lo:[1,0,0] neg_hi:[1,0,0]
	v_pk_fma_f32 v[54:55], v[46:47], s[8:9], v[22:23]
	v_pk_add_f32 v[2:3], v[48:49], v[2:3]
	v_mov_b32_e32 v51, v7
	v_pk_fma_f32 v[6:7], v[42:43], s[26:27], v[12:13] neg_lo:[0,0,1] neg_hi:[0,0,1]
	v_mov_b32_e32 v45, v55
	v_pk_add_f32 v[2:3], v[50:51], v[2:3]
	v_mov_b32_e32 v53, v7
	v_pk_fma_f32 v[6:7], v[46:47], s[8:9], v[22:23] neg_lo:[0,0,1] neg_hi:[0,0,1]
	v_pk_add_f32 v[32:33], v[58:59], v[32:33]
	v_pk_add_f32 v[36:37], v[44:45], v[36:37]
	;; [unrolled: 1-line block ×3, first 2 shown]
	v_mov_b32_e32 v55, v7
	global_store_dwordx2 v[16:17], v[0:1], off offset:352
	global_store_dwordx2 v[16:17], v[18:19], off offset:1024
	;; [unrolled: 1-line block ×6, first 2 shown]
	v_add_co_u32_e32 v0, vcc, 0x1000, v16
	v_pk_add_f32 v[24:25], v[56:57], v[24:25]
	v_pk_add_f32 v[2:3], v[54:55], v[2:3]
	v_addc_co_u32_e32 v1, vcc, 0, v17, vcc
	v_pk_add_f32 v[24:25], v[60:61], v[24:25]
	global_store_dwordx2 v[0:1], v[2:3], off offset:288
	global_store_dwordx2 v[0:1], v[24:25], off offset:960
	;; [unrolled: 1-line block ×5, first 2 shown]
	s_endpgm
	.section	.rodata,"a",@progbits
	.p2align	6, 0x0
	.amdhsa_kernel fft_rtc_fwd_len924_factors_2_2_3_7_11_wgs_44_tpt_44_halfLds_sp_ip_CI_unitstride_sbrr_dirReg
		.amdhsa_group_segment_fixed_size 0
		.amdhsa_private_segment_fixed_size 0
		.amdhsa_kernarg_size 88
		.amdhsa_user_sgpr_count 2
		.amdhsa_user_sgpr_dispatch_ptr 0
		.amdhsa_user_sgpr_queue_ptr 0
		.amdhsa_user_sgpr_kernarg_segment_ptr 1
		.amdhsa_user_sgpr_dispatch_id 0
		.amdhsa_user_sgpr_kernarg_preload_length 0
		.amdhsa_user_sgpr_kernarg_preload_offset 0
		.amdhsa_user_sgpr_private_segment_size 0
		.amdhsa_uses_dynamic_stack 0
		.amdhsa_enable_private_segment 0
		.amdhsa_system_sgpr_workgroup_id_x 1
		.amdhsa_system_sgpr_workgroup_id_y 0
		.amdhsa_system_sgpr_workgroup_id_z 0
		.amdhsa_system_sgpr_workgroup_info 0
		.amdhsa_system_vgpr_workitem_id 0
		.amdhsa_next_free_vgpr 148
		.amdhsa_next_free_sgpr 46
		.amdhsa_accum_offset 148
		.amdhsa_reserve_vcc 1
		.amdhsa_float_round_mode_32 0
		.amdhsa_float_round_mode_16_64 0
		.amdhsa_float_denorm_mode_32 3
		.amdhsa_float_denorm_mode_16_64 3
		.amdhsa_dx10_clamp 1
		.amdhsa_ieee_mode 1
		.amdhsa_fp16_overflow 0
		.amdhsa_tg_split 0
		.amdhsa_exception_fp_ieee_invalid_op 0
		.amdhsa_exception_fp_denorm_src 0
		.amdhsa_exception_fp_ieee_div_zero 0
		.amdhsa_exception_fp_ieee_overflow 0
		.amdhsa_exception_fp_ieee_underflow 0
		.amdhsa_exception_fp_ieee_inexact 0
		.amdhsa_exception_int_div_zero 0
	.end_amdhsa_kernel
	.text
.Lfunc_end0:
	.size	fft_rtc_fwd_len924_factors_2_2_3_7_11_wgs_44_tpt_44_halfLds_sp_ip_CI_unitstride_sbrr_dirReg, .Lfunc_end0-fft_rtc_fwd_len924_factors_2_2_3_7_11_wgs_44_tpt_44_halfLds_sp_ip_CI_unitstride_sbrr_dirReg
                                        ; -- End function
	.section	.AMDGPU.csdata,"",@progbits
; Kernel info:
; codeLenInByte = 12808
; NumSgprs: 52
; NumVgprs: 148
; NumAgprs: 0
; TotalNumVgprs: 148
; ScratchSize: 0
; MemoryBound: 0
; FloatMode: 240
; IeeeMode: 1
; LDSByteSize: 0 bytes/workgroup (compile time only)
; SGPRBlocks: 6
; VGPRBlocks: 18
; NumSGPRsForWavesPerEU: 52
; NumVGPRsForWavesPerEU: 148
; AccumOffset: 148
; Occupancy: 3
; WaveLimiterHint : 1
; COMPUTE_PGM_RSRC2:SCRATCH_EN: 0
; COMPUTE_PGM_RSRC2:USER_SGPR: 2
; COMPUTE_PGM_RSRC2:TRAP_HANDLER: 0
; COMPUTE_PGM_RSRC2:TGID_X_EN: 1
; COMPUTE_PGM_RSRC2:TGID_Y_EN: 0
; COMPUTE_PGM_RSRC2:TGID_Z_EN: 0
; COMPUTE_PGM_RSRC2:TIDIG_COMP_CNT: 0
; COMPUTE_PGM_RSRC3_GFX90A:ACCUM_OFFSET: 36
; COMPUTE_PGM_RSRC3_GFX90A:TG_SPLIT: 0
	.text
	.p2alignl 6, 3212836864
	.fill 256, 4, 3212836864
	.type	__hip_cuid_514c2227f54ae360,@object ; @__hip_cuid_514c2227f54ae360
	.section	.bss,"aw",@nobits
	.globl	__hip_cuid_514c2227f54ae360
__hip_cuid_514c2227f54ae360:
	.byte	0                               ; 0x0
	.size	__hip_cuid_514c2227f54ae360, 1

	.ident	"AMD clang version 19.0.0git (https://github.com/RadeonOpenCompute/llvm-project roc-6.4.0 25133 c7fe45cf4b819c5991fe208aaa96edf142730f1d)"
	.section	".note.GNU-stack","",@progbits
	.addrsig
	.addrsig_sym __hip_cuid_514c2227f54ae360
	.amdgpu_metadata
---
amdhsa.kernels:
  - .agpr_count:     0
    .args:
      - .actual_access:  read_only
        .address_space:  global
        .offset:         0
        .size:           8
        .value_kind:     global_buffer
      - .offset:         8
        .size:           8
        .value_kind:     by_value
      - .actual_access:  read_only
        .address_space:  global
        .offset:         16
        .size:           8
        .value_kind:     global_buffer
      - .actual_access:  read_only
        .address_space:  global
        .offset:         24
        .size:           8
        .value_kind:     global_buffer
      - .offset:         32
        .size:           8
        .value_kind:     by_value
      - .actual_access:  read_only
        .address_space:  global
        .offset:         40
        .size:           8
        .value_kind:     global_buffer
      - .actual_access:  read_only
        .address_space:  global
        .offset:         48
        .size:           8
        .value_kind:     global_buffer
      - .offset:         56
        .size:           4
        .value_kind:     by_value
      - .actual_access:  read_only
        .address_space:  global
        .offset:         64
        .size:           8
        .value_kind:     global_buffer
      - .actual_access:  read_only
        .address_space:  global
        .offset:         72
        .size:           8
        .value_kind:     global_buffer
      - .address_space:  global
        .offset:         80
        .size:           8
        .value_kind:     global_buffer
    .group_segment_fixed_size: 0
    .kernarg_segment_align: 8
    .kernarg_segment_size: 88
    .language:       OpenCL C
    .language_version:
      - 2
      - 0
    .max_flat_workgroup_size: 44
    .name:           fft_rtc_fwd_len924_factors_2_2_3_7_11_wgs_44_tpt_44_halfLds_sp_ip_CI_unitstride_sbrr_dirReg
    .private_segment_fixed_size: 0
    .sgpr_count:     52
    .sgpr_spill_count: 0
    .symbol:         fft_rtc_fwd_len924_factors_2_2_3_7_11_wgs_44_tpt_44_halfLds_sp_ip_CI_unitstride_sbrr_dirReg.kd
    .uniform_work_group_size: 1
    .uses_dynamic_stack: false
    .vgpr_count:     148
    .vgpr_spill_count: 0
    .wavefront_size: 64
amdhsa.target:   amdgcn-amd-amdhsa--gfx950
amdhsa.version:
  - 1
  - 2
...

	.end_amdgpu_metadata
